;; amdgpu-corpus repo=ROCm/rocFFT kind=compiled arch=gfx1201 opt=O3
	.text
	.amdgcn_target "amdgcn-amd-amdhsa--gfx1201"
	.amdhsa_code_object_version 6
	.protected	bluestein_single_back_len405_dim1_half_op_CI_CI ; -- Begin function bluestein_single_back_len405_dim1_half_op_CI_CI
	.globl	bluestein_single_back_len405_dim1_half_op_CI_CI
	.p2align	8
	.type	bluestein_single_back_len405_dim1_half_op_CI_CI,@function
bluestein_single_back_len405_dim1_half_op_CI_CI: ; @bluestein_single_back_len405_dim1_half_op_CI_CI
; %bb.0:
	s_load_b128 s[12:15], s[0:1], 0x28
	v_mul_u32_u24_e32 v1, 0x97c, v0
	v_mov_b32_e32 v2, 0
	s_mov_b32 s2, exec_lo
	s_delay_alu instid0(VALU_DEP_2) | instskip(NEXT) | instid1(VALU_DEP_1)
	v_lshrrev_b32_e32 v17, 16, v1
	v_lshl_add_u32 v1, ttmp9, 2, v17
	s_wait_kmcnt 0x0
	s_delay_alu instid0(VALU_DEP_1)
	v_cmpx_gt_u64_e64 s[12:13], v[1:2]
	s_cbranch_execz .LBB0_2
; %bb.1:
	s_clause 0x1
	s_load_b128 s[8:11], s[0:1], 0x18
	s_load_b128 s[4:7], s[0:1], 0x0
	v_mul_lo_u16 v2, v17, 27
	s_load_b64 s[0:1], s[0:1], 0x38
	s_mov_b32 s28, 0x30abee4d
	s_mov_b32 s29, 0x3f643a27
	s_delay_alu instid0(VALU_DEP_1) | instskip(NEXT) | instid1(VALU_DEP_1)
	v_sub_nc_u16 v24, v0, v2
	v_and_b32_e32 v0, 0xffff, v24
	s_wait_kmcnt 0x0
	s_load_b128 s[16:19], s[8:9], 0x0
	s_wait_kmcnt 0x0
	v_mad_co_u64_u32 v[2:3], null, s18, v1, 0
	v_mad_co_u64_u32 v[4:5], null, s16, v0, 0
	s_mul_u64 s[2:3], s[16:17], 0x144
	s_mul_i32 s8, s17, 0xfffffb5c
	s_delay_alu instid0(SALU_CYCLE_1) | instskip(NEXT) | instid1(VALU_DEP_1)
	s_sub_co_i32 s8, s8, s16
	v_mad_co_u64_u32 v[6:7], null, s19, v1, v[3:4]
	s_delay_alu instid0(VALU_DEP_1) | instskip(NEXT) | instid1(VALU_DEP_3)
	v_mov_b32_e32 v3, v6
	v_mad_co_u64_u32 v[7:8], null, s17, v0, v[5:6]
	v_lshlrev_b32_e32 v74, 2, v0
	v_add_co_u32 v26, null, v0, 54
	s_delay_alu instid0(VALU_DEP_4)
	v_lshlrev_b64_e32 v[2:3], 2, v[2:3]
	v_add_co_u32 v28, null, 0x51, v0
	v_mov_b32_e32 v5, v7
	s_clause 0x4
	global_load_b32 v52, v74, s[4:5]
	global_load_b32 v51, v74, s[4:5] offset:108
	global_load_b32 v49, v74, s[4:5] offset:756
	;; [unrolled: 1-line block ×4, first 2 shown]
	v_add_co_u32 v2, vcc_lo, s14, v2
	v_lshlrev_b64_e32 v[4:5], 2, v[4:5]
	v_add_co_ci_u32_e32 v3, vcc_lo, s15, v3, vcc_lo
	s_clause 0x9
	global_load_b32 v55, v74, s[4:5] offset:432
	global_load_b32 v56, v74, s[4:5] offset:324
	;; [unrolled: 1-line block ×10, first 2 shown]
	v_add_co_u32 v2, vcc_lo, v2, v4
	s_wait_alu 0xfffd
	v_add_co_ci_u32_e32 v3, vcc_lo, v3, v5, vcc_lo
	v_mul_u32_u24_e32 v23, 5, v26
	s_delay_alu instid0(VALU_DEP_3) | instskip(SKIP_1) | instid1(VALU_DEP_3)
	v_add_co_u32 v4, vcc_lo, v2, s2
	s_wait_alu 0xfffd
	v_add_co_ci_u32_e32 v5, vcc_lo, s3, v3, vcc_lo
	global_load_b32 v16, v[2:3], off
	v_and_b32_e32 v30, 0xff, v26
	v_add_co_u32 v29, null, 0x6c, v0
	global_load_b32 v15, v[4:5], off
	v_add_co_u32 v2, vcc_lo, v4, s2
	s_wait_alu 0xfffd
	v_add_co_ci_u32_e32 v3, vcc_lo, s3, v5, vcc_lo
	s_delay_alu instid0(VALU_DEP_2) | instskip(SKIP_1) | instid1(VALU_DEP_2)
	v_add_co_u32 v4, vcc_lo, v2, s2
	s_wait_alu 0xfffd
	v_add_co_ci_u32_e32 v5, vcc_lo, s3, v3, vcc_lo
	global_load_b32 v12, v[2:3], off
	v_add_co_u32 v6, vcc_lo, v4, s2
	s_wait_alu 0xfffd
	v_add_co_ci_u32_e32 v7, vcc_lo, s3, v5, vcc_lo
	s_clause 0x1
	global_load_b32 v13, v[4:5], off
	global_load_b32 v14, v[6:7], off
	v_mad_co_u64_u32 v[2:3], null, 0xfffffb5c, s16, v[6:7]
	s_delay_alu instid0(VALU_DEP_1) | instskip(NEXT) | instid1(VALU_DEP_2)
	v_add_nc_u32_e32 v3, s8, v3
	v_add_co_u32 v4, vcc_lo, v2, s2
	s_wait_alu 0xfffd
	s_delay_alu instid0(VALU_DEP_2)
	v_add_co_ci_u32_e32 v5, vcc_lo, s3, v3, vcc_lo
	global_load_b32 v11, v[2:3], off
	v_add_co_u32 v2, vcc_lo, v4, s2
	s_wait_alu 0xfffd
	v_add_co_ci_u32_e32 v3, vcc_lo, s3, v5, vcc_lo
	global_load_b32 v10, v[4:5], off
	v_add_co_u32 v4, vcc_lo, v2, s2
	s_wait_alu 0xfffd
	;; [unrolled: 4-line block ×3, first 2 shown]
	v_add_co_ci_u32_e32 v7, vcc_lo, s3, v5, vcc_lo
	s_delay_alu instid0(VALU_DEP_1)
	v_mad_co_u64_u32 v[2:3], null, 0xfffffb5c, s16, v[6:7]
	global_load_b32 v8, v[4:5], off
	global_load_b32 v7, v[6:7], off
	v_add_nc_u32_e32 v3, s8, v3
	v_add_co_u32 v4, vcc_lo, v2, s2
	s_wait_alu 0xfffd
	s_delay_alu instid0(VALU_DEP_2)
	v_add_co_ci_u32_e32 v5, vcc_lo, s3, v3, vcc_lo
	global_load_b32 v6, v[2:3], off
	v_add_co_u32 v2, vcc_lo, v4, s2
	s_wait_alu 0xfffd
	v_add_co_ci_u32_e32 v3, vcc_lo, s3, v5, vcc_lo
	global_load_b32 v5, v[4:5], off
	v_add_co_u32 v18, vcc_lo, v2, s2
	s_wait_alu 0xfffd
	;; [unrolled: 4-line block ×3, first 2 shown]
	v_add_co_ci_u32_e32 v21, vcc_lo, s3, v19, vcc_lo
	global_load_b32 v4, v[18:19], off
	global_load_b32 v3, v[20:21], off
	v_add_co_u32 v27, s2, v0, 27
	v_and_b32_e32 v17, 3, v17
	s_load_b128 s[24:27], s[10:11], 0x0
	v_and_b32_e32 v18, 0xff, v24
	v_mul_lo_u16 v19, v24, 5
	v_and_b32_e32 v21, 0xff, v27
	v_mul_u32_u24_e32 v17, 0x195, v17
	v_and_b32_e32 v20, 0xff, v29
	v_cmp_gt_u16_e32 vcc_lo, 15, v24
	s_delay_alu instid0(VALU_DEP_4) | instskip(NEXT) | instid1(VALU_DEP_4)
	v_mul_lo_u16 v31, 0xcd, v21
	v_lshlrev_b32_e32 v25, 2, v17
	v_mul_lo_u16 v17, 0xcd, v18
	v_and_b32_e32 v18, 0xffff, v19
	v_mul_lo_u16 v33, 0xcd, v20
	v_lshrrev_b16 v31, 10, v31
	v_add_nc_u32_e32 v54, v25, v74
	v_lshrrev_b16 v22, 10, v17
	v_lshl_add_u32 v129, v18, 2, v25
	v_mul_u32_u24_e32 v18, 5, v27
	v_and_b32_e32 v17, 0xff, v28
	v_lshl_add_u32 v130, v23, 2, v25
	v_mul_lo_u16 v32, v22, 5
	v_add_nc_u32_e32 v71, 0x400, v54
	v_lshl_add_u32 v131, v18, 2, v25
	v_mul_lo_u16 v18, 0xcd, v30
	v_mul_lo_u16 v23, 0xcd, v17
	v_sub_nc_u16 v76, v24, v32
	v_mul_lo_u16 v32, v31, 5
	v_lshrrev_b16 v75, 10, v33
	v_lshrrev_b16 v18, 10, v18
	;; [unrolled: 1-line block ×3, first 2 shown]
	v_lshlrev_b16 v34, 1, v76
	v_sub_nc_u16 v32, v27, v32
	v_mul_lo_u16 v33, v75, 5
	v_mul_lo_u16 v35, v18, 5
	;; [unrolled: 1-line block ×3, first 2 shown]
	v_and_b32_e32 v34, 0xfe, v34
	v_add_co_ci_u32_e64 v19, null, 0, 0, s2
	v_sub_nc_u16 v33, v29, v33
	s_wait_loadcnt 0x1b
	v_lshrrev_b32_e32 v65, 16, v49
	v_lshrrev_b32_e32 v73, 16, v52
	s_wait_loadcnt 0x1a
	v_lshrrev_b32_e32 v70, 16, v53
	v_lshrrev_b32_e32 v67, 16, v51
	s_wait_loadcnt 0x19
	v_lshrrev_b32_e32 v61, 16, v45
	s_wait_loadcnt 0x18
	;; [unrolled: 2-line block ×6, first 2 shown]
	v_lshrrev_b32_e32 v69, 16, v59
	v_lshrrev_b32_e32 v64, 16, v48
	;; [unrolled: 1-line block ×3, first 2 shown]
	s_wait_loadcnt 0xf
	v_lshrrev_b32_e32 v60, 16, v44
	v_lshrrev_b32_e32 v57, 16, v43
	v_lshrrev_b32_e32 v50, 16, v42
	s_wait_loadcnt 0xe
	v_lshrrev_b32_e32 v37, 16, v16
	v_mul_f16_e32 v38, v73, v16
	s_wait_loadcnt 0xd
	v_lshrrev_b32_e32 v40, 16, v15
	s_delay_alu instid0(VALU_DEP_3) | instskip(SKIP_2) | instid1(VALU_DEP_3)
	v_mul_f16_e32 v39, v73, v37
	v_mul_f16_e32 v41, v72, v15
	v_fma_f16 v37, v52, v37, -v38
	v_fmac_f16_e32 v39, v52, v16
	v_mul_f16_e32 v16, v72, v40
	s_delay_alu instid0(VALU_DEP_4)
	v_fma_f16 v40, v56, v40, -v41
	s_wait_loadcnt 0xc
	v_lshrrev_b32_e32 v38, 16, v12
	v_mul_f16_e32 v41, v70, v12
	v_pack_b32_f16 v37, v39, v37
	v_fmac_f16_e32 v16, v56, v15
	s_delay_alu instid0(VALU_DEP_4)
	v_mul_f16_e32 v15, v70, v38
	s_wait_loadcnt 0xb
	v_lshrrev_b32_e32 v39, 16, v13
	v_fma_f16 v38, v53, v38, -v41
	s_wait_loadcnt 0xa
	v_lshrrev_b32_e32 v41, 16, v14
	v_mul_f16_e32 v77, v69, v13
	v_pack_b32_f16 v16, v16, v40
	v_mul_f16_e32 v40, v69, v39
	v_mul_f16_e32 v78, v68, v14
	;; [unrolled: 1-line block ×3, first 2 shown]
	v_fmac_f16_e32 v15, v53, v12
	v_fma_f16 v12, v59, v39, -v77
	v_fmac_f16_e32 v40, v59, v13
	v_fma_f16 v13, v58, v41, -v78
	v_fmac_f16_e32 v79, v58, v14
	v_pack_b32_f16 v15, v15, v38
	v_and_b32_e32 v77, 0xff, v32
	v_pack_b32_f16 v12, v40, v12
	v_and_b32_e32 v78, 0xff, v33
	s_wait_loadcnt 0x9
	v_lshrrev_b32_e32 v14, 16, v11
	v_mul_f16_e32 v38, v67, v11
	v_pack_b32_f16 v13, v79, v13
	ds_store_b32 v54, v16 offset:324
	ds_store_b32 v54, v15 offset:648
	;; [unrolled: 1-line block ×4, first 2 shown]
	v_mul_f16_e32 v39, v67, v14
	s_wait_loadcnt 0x8
	v_lshrrev_b32_e32 v40, 16, v10
	v_fma_f16 v14, v51, v14, -v38
	v_mul_f16_e32 v38, v66, v10
	v_fmac_f16_e32 v39, v51, v11
	s_delay_alu instid0(VALU_DEP_4)
	v_mul_f16_e32 v11, v66, v40
	s_wait_loadcnt 0x7
	v_lshrrev_b32_e32 v12, 16, v9
	v_mul_f16_e32 v13, v65, v9
	v_fma_f16 v15, v55, v40, -v38
	v_pack_b32_f16 v14, v39, v14
	v_fmac_f16_e32 v11, v55, v10
	v_mul_f16_e32 v10, v65, v12
	v_fma_f16 v12, v49, v12, -v13
	s_wait_loadcnt 0x6
	v_lshrrev_b32_e32 v13, 16, v8
	v_mul_f16_e32 v16, v64, v8
	ds_store_2addr_b32 v54, v37, v14 offset1:27
	v_pack_b32_f16 v11, v11, v15
	s_wait_loadcnt 0x5
	v_lshrrev_b32_e32 v14, 16, v7
	v_mul_f16_e32 v15, v64, v13
	v_fmac_f16_e32 v10, v49, v9
	v_fma_f16 v13, v48, v13, -v16
	v_mul_f16_e32 v9, v63, v7
	v_mul_f16_e32 v16, v63, v14
	v_fmac_f16_e32 v15, v48, v8
	v_pack_b32_f16 v8, v10, v12
	s_delay_alu instid0(VALU_DEP_4)
	v_fma_f16 v9, v47, v14, -v9
	s_wait_loadcnt 0x4
	v_lshrrev_b32_e32 v10, 16, v6
	v_fmac_f16_e32 v16, v47, v7
	v_pack_b32_f16 v7, v15, v13
	v_mul_f16_e32 v12, v62, v6
	s_wait_loadcnt 0x3
	v_lshrrev_b32_e32 v13, 16, v5
	v_mul_f16_e32 v14, v62, v10
	v_mul_f16_e32 v15, v61, v5
	v_fma_f16 v10, v46, v10, -v12
	v_pack_b32_f16 v9, v16, v9
	v_mul_f16_e32 v12, v61, v13
	v_fmac_f16_e32 v14, v46, v6
	s_wait_loadcnt 0x2
	v_lshrrev_b32_e32 v6, 16, v2
	v_fma_f16 v13, v45, v13, -v15
	v_mul_f16_e32 v15, v60, v2
	v_fmac_f16_e32 v12, v45, v5
	s_wait_loadcnt 0x1
	v_lshrrev_b32_e32 v5, 16, v4
	s_wait_loadcnt 0x0
	v_lshrrev_b32_e32 v37, 16, v3
	v_mul_f16_e32 v16, v60, v6
	v_fma_f16 v6, v44, v6, -v15
	v_mul_f16_e32 v15, v57, v4
	v_mul_f16_e32 v38, v57, v5
	;; [unrolled: 1-line block ×4, first 2 shown]
	v_fmac_f16_e32 v16, v44, v2
	v_fma_f16 v2, v43, v5, -v15
	v_fmac_f16_e32 v38, v43, v4
	v_fma_f16 v4, v42, v37, -v39
	v_fmac_f16_e32 v40, v42, v3
	v_pack_b32_f16 v3, v14, v10
	v_pack_b32_f16 v5, v12, v13
	v_sub_nc_u16 v12, v26, v35
	v_sub_nc_u16 v14, v28, v36
	v_pack_b32_f16 v6, v16, v6
	v_pack_b32_f16 v2, v38, v2
	;; [unrolled: 1-line block ×3, first 2 shown]
	ds_store_b32 v54, v3 offset:216
	ds_store_2addr_b32 v54, v11, v5 offset0:108 offset1:135
	ds_store_2addr_b32 v54, v8, v6 offset0:189 offset1:216
	;; [unrolled: 1-line block ×4, first 2 shown]
	global_wb scope:SCOPE_SE
	s_wait_dscnt 0x0
	s_wait_kmcnt 0x0
	s_barrier_signal -1
	s_barrier_wait -1
	global_inv scope:SCOPE_SE
	ds_load_2addr_b32 v[2:3], v54 offset1:27
	ds_load_2addr_b32 v[4:5], v54 offset0:108 offset1:135
	ds_load_2addr_b32 v[6:7], v54 offset0:162 offset1:189
	;; [unrolled: 1-line block ×4, first 2 shown]
	v_and_b32_e32 v79, 0xff, v12
	ds_load_2addr_b32 v[12:13], v54 offset0:54 offset1:81
	v_and_b32_e32 v80, 0xff, v14
	ds_load_2addr_b32 v[14:15], v54 offset0:216 offset1:243
	ds_load_b32 v32, v54 offset:1512
	v_lshlrev_b32_e32 v16, 2, v34
	v_lshlrev_b32_e32 v35, 3, v78
	v_lshlrev_b32_e32 v34, 3, v77
	v_lshlrev_b32_e32 v36, 3, v79
	global_wb scope:SCOPE_SE
	s_wait_dscnt 0x0
	s_barrier_signal -1
	s_barrier_wait -1
	global_inv scope:SCOPE_SE
	v_pk_add_f16 v33, v3, v4
	v_pk_add_f16 v40, v4, v7 neg_lo:[0,1] neg_hi:[0,1]
	v_pk_add_f16 v37, v7, v8
	v_pk_add_f16 v38, v4, v11 neg_lo:[0,1] neg_hi:[0,1]
	v_pk_add_f16 v39, v7, v8 neg_lo:[0,1] neg_hi:[0,1]
	;; [unrolled: 1-line block ×3, first 2 shown]
	v_pk_add_f16 v81, v4, v11
	v_pk_add_f16 v83, v12, v5
	;; [unrolled: 1-line block ×4, first 2 shown]
	v_pk_add_f16 v86, v13, v10 neg_lo:[0,1] neg_hi:[0,1]
	v_pk_add_f16 v87, v6, v15 neg_lo:[0,1] neg_hi:[0,1]
	v_pk_add_f16 v90, v13, v10
	v_pk_add_f16 v4, v7, v4 neg_lo:[0,1] neg_hi:[0,1]
	v_pk_add_f16 v82, v8, v11 neg_lo:[0,1] neg_hi:[0,1]
	v_pk_add_f16 v88, v13, v6 neg_lo:[0,1] neg_hi:[0,1]
	v_pk_add_f16 v89, v10, v15 neg_lo:[0,1] neg_hi:[0,1]
	v_pk_add_f16 v13, v6, v13 neg_lo:[0,1] neg_hi:[0,1]
	v_pk_add_f16 v91, v15, v10 neg_lo:[0,1] neg_hi:[0,1]
	v_pk_add_f16 v92, v14, v9
	v_pk_add_f16 v93, v5, v32 neg_lo:[0,1] neg_hi:[0,1]
	v_pk_add_f16 v94, v14, v9 neg_lo:[0,1] neg_hi:[0,1]
	;; [unrolled: 1-line block ×3, first 2 shown]
	v_pk_add_f16 v97, v5, v32
	v_pk_add_f16 v5, v14, v5 neg_lo:[0,1] neg_hi:[0,1]
	v_pk_add_f16 v7, v33, v7
	v_pk_add_f16 v6, v84, v6
	v_pk_fma_f16 v33, v37, 0.5, v3 op_sel_hi:[1,0,1] neg_lo:[1,0,0] neg_hi:[1,0,0]
	v_pk_fma_f16 v3, v81, 0.5, v3 op_sel_hi:[1,0,1] neg_lo:[1,0,0] neg_hi:[1,0,0]
	;; [unrolled: 1-line block ×3, first 2 shown]
	v_pk_add_f16 v40, v40, v41
	v_pk_mul_f16 v41, 0x3b9c, v38 op_sel_hi:[0,1]
	v_pk_mul_f16 v81, 0x38b4, v39 op_sel_hi:[0,1]
	;; [unrolled: 1-line block ×3, first 2 shown]
	v_pk_add_f16 v14, v83, v14
	v_pk_mul_f16 v83, 0x3b9c, v86 op_sel_hi:[0,1]
	v_pk_fma_f16 v2, v90, 0.5, v2 op_sel_hi:[1,0,1] neg_lo:[1,0,0] neg_hi:[1,0,0]
	v_pk_mul_f16 v85, 0x3b9c, v87 op_sel_hi:[0,1]
	v_pk_add_f16 v96, v32, v9 neg_lo:[0,1] neg_hi:[0,1]
	v_pk_add_f16 v98, v9, v32 neg_lo:[0,1] neg_hi:[0,1]
	v_pk_add_f16 v4, v4, v82
	v_pk_mul_f16 v38, 0x38b4, v38 op_sel_hi:[0,1]
	v_pk_add_f16 v82, v88, v89
	v_pk_add_f16 v13, v13, v91
	v_pk_mul_f16 v84, 0x38b4, v87 op_sel_hi:[0,1]
	v_pk_fma_f16 v87, v92, 0.5, v12 op_sel_hi:[1,0,1] neg_lo:[1,0,0] neg_hi:[1,0,0]
	v_pk_fma_f16 v12, v97, 0.5, v12 op_sel_hi:[1,0,1] neg_lo:[1,0,0] neg_hi:[1,0,0]
	v_pk_mul_f16 v88, 0x3b9c, v93 op_sel_hi:[0,1]
	v_pk_mul_f16 v91, 0x3b9c, v94 op_sel_hi:[0,1]
	v_pk_add_f16 v7, v7, v8
	v_pk_add_f16 v8, v33, v41 op_sel:[0,1] op_sel_hi:[1,0]
	v_pk_add_f16 v33, v33, v41 op_sel:[0,1] op_sel_hi:[1,0] neg_lo:[0,1] neg_hi:[0,1]
	v_pk_add_f16 v41, v3, v39 op_sel:[0,1] op_sel_hi:[1,0] neg_lo:[0,1] neg_hi:[0,1]
	v_pk_add_f16 v3, v3, v39 op_sel:[0,1] op_sel_hi:[1,0]
	v_pk_add_f16 v9, v14, v9
	v_pk_add_f16 v6, v6, v15
	v_pk_add_f16 v14, v37, v83 op_sel:[0,1] op_sel_hi:[1,0]
	v_pk_add_f16 v15, v37, v83 op_sel:[0,1] op_sel_hi:[1,0] neg_lo:[0,1] neg_hi:[0,1]
	v_pk_mul_f16 v86, 0x38b4, v86 op_sel_hi:[0,1]
	v_pk_add_f16 v37, v2, v85 op_sel:[0,1] op_sel_hi:[1,0] neg_lo:[0,1] neg_hi:[0,1]
	v_pk_add_f16 v2, v2, v85 op_sel:[0,1] op_sel_hi:[1,0]
	v_pk_mul_f16 v89, 0x38b4, v94 op_sel_hi:[0,1]
	v_pk_mul_f16 v92, 0x38b4, v93 op_sel_hi:[0,1]
	v_pk_add_f16 v39, v87, v88 op_sel:[0,1] op_sel_hi:[1,0]
	v_pk_add_f16 v83, v87, v88 op_sel:[0,1] op_sel_hi:[1,0] neg_lo:[0,1] neg_hi:[0,1]
	v_pk_add_f16 v85, v12, v91 op_sel:[0,1] op_sel_hi:[1,0] neg_lo:[0,1] neg_hi:[0,1]
	v_pk_add_f16 v12, v12, v91 op_sel:[0,1] op_sel_hi:[1,0]
	v_pk_add_f16 v7, v7, v11
	v_pk_add_f16 v8, v8, v81 op_sel:[0,1] op_sel_hi:[1,0]
	v_pk_add_f16 v11, v33, v81 op_sel:[0,1] op_sel_hi:[1,0] neg_lo:[0,1] neg_hi:[0,1]
	v_pk_add_f16 v33, v41, v38 op_sel:[0,1] op_sel_hi:[1,0]
	v_pk_add_f16 v3, v3, v38 op_sel:[0,1] op_sel_hi:[1,0] neg_lo:[0,1] neg_hi:[0,1]
	v_pk_add_f16 v6, v6, v10
	v_pk_add_f16 v10, v14, v84 op_sel:[0,1] op_sel_hi:[1,0]
	v_pk_add_f16 v14, v15, v84 op_sel:[0,1] op_sel_hi:[1,0] neg_lo:[0,1] neg_hi:[0,1]
	v_pk_add_f16 v15, v37, v86 op_sel:[0,1] op_sel_hi:[1,0]
	v_pk_add_f16 v2, v2, v86 op_sel:[0,1] op_sel_hi:[1,0] neg_lo:[0,1] neg_hi:[0,1]
	;; [unrolled: 5-line block ×3, first 2 shown]
	v_bfi_b32 v39, 0xffff, v8, v11
	v_bfi_b32 v41, 0xffff, v33, v3
	;; [unrolled: 1-line block ×8, first 2 shown]
	v_pk_add_f16 v90, v95, v96
	v_pk_add_f16 v5, v5, v98
	v_bfi_b32 v14, 0xffff, v32, v37
	v_bfi_b32 v15, 0xffff, v38, v12
	;; [unrolled: 1-line block ×4, first 2 shown]
	v_pk_fma_f16 v38, 0x34f2, v4, v41 op_sel_hi:[0,1,1]
	v_pk_fma_f16 v3, 0x34f2, v4, v3 op_sel_hi:[0,1,1]
	;; [unrolled: 1-line block ×12, first 2 shown]
	ds_store_2addr_b32 v129, v6, v8 offset1:1
	ds_store_2addr_b32 v129, v11, v2 offset0:2 offset1:3
	ds_store_b32 v129, v10 offset:16
	ds_store_2addr_b32 v131, v7, v37 offset1:1
	ds_store_2addr_b32 v131, v38, v3 offset0:2 offset1:3
	ds_store_b32 v131, v4 offset:16
	;; [unrolled: 3-line block ×3, first 2 shown]
	v_lshlrev_b32_e32 v2, 3, v80
	global_wb scope:SCOPE_SE
	s_wait_dscnt 0x0
	s_barrier_signal -1
	s_barrier_wait -1
	global_inv scope:SCOPE_SE
	s_clause 0x4
	global_load_b64 v[32:33], v16, s[6:7]
	global_load_b64 v[38:39], v35, s[6:7]
	;; [unrolled: 1-line block ×5, first 2 shown]
	v_add_co_u32 v2, s2, v0, -15
	s_wait_alu 0xf1ff
	v_add_co_ci_u32_e64 v3, null, 0, -1, s2
	v_mul_lo_u16 v4, 0x89, v20
	s_wait_alu 0xfffd
	v_cndmask_b32_e32 v12, v2, v0, vcc_lo
	v_mul_lo_u16 v5, 0x89, v21
	v_cndmask_b32_e64 v13, v3, 0, vcc_lo
	v_mul_lo_u16 v6, 0x89, v30
	v_mul_lo_u16 v7, 0x89, v17
	v_and_b32_e32 v8, 0xffff, v75
	v_lshrrev_b16 v15, 11, v5
	v_lshlrev_b64_e32 v[2:3], 3, v[12:13]
	v_lshrrev_b16 v13, 11, v4
	v_lshrrev_b16 v16, 11, v6
	;; [unrolled: 1-line block ×3, first 2 shown]
	v_mad_u16 v4, v22, 15, v76
	v_mul_lo_u16 v5, v31, 15
	v_and_b32_e32 v6, 0xffff, v18
	v_and_b32_e32 v7, 0xffff, v23
	v_mul_lo_u16 v9, v13, 15
	v_mul_lo_u16 v10, v15, 15
	;; [unrolled: 1-line block ×4, first 2 shown]
	v_and_b32_e32 v4, 0xff, v4
	v_and_b32_e32 v5, 0xff, v5
	v_mul_u32_u24_e32 v6, 15, v6
	v_mul_u32_u24_e32 v7, 15, v7
	;; [unrolled: 1-line block ×3, first 2 shown]
	v_sub_nc_u16 v9, v29, v9
	v_sub_nc_u16 v10, v27, v10
	;; [unrolled: 1-line block ×4, first 2 shown]
	v_lshl_add_u32 v114, v4, 2, v25
	v_add_nc_u32_e32 v30, v5, v77
	v_add_nc_u32_e32 v79, v6, v79
	;; [unrolled: 1-line block ×3, first 2 shown]
	ds_load_2addr_b32 v[4:5], v54 offset0:108 offset1:135
	ds_load_2addr_b32 v[6:7], v71 offset0:14 offset1:41
	v_and_b32_e32 v18, 0xff, v9
	v_and_b32_e32 v21, 0xff, v10
	;; [unrolled: 1-line block ×4, first 2 shown]
	v_add_nc_u32_e32 v81, v8, v78
	ds_load_2addr_b32 v[8:9], v54 offset0:216 offset1:243
	ds_load_b32 v83, v54 offset:1512
	ds_load_2addr_b32 v[10:11], v54 offset0:162 offset1:189
	ds_load_2addr_b32 v[22:23], v54 offset1:27
	ds_load_2addr_b32 v[76:77], v71 offset0:68 offset1:95
	v_lshl_add_u32 v117, v79, 2, v25
	ds_load_2addr_b32 v[78:79], v54 offset0:54 offset1:81
	v_lshl_add_u32 v116, v30, 2, v25
	v_lshl_add_u32 v118, v80, 2, v25
	v_lshl_add_u32 v115, v81, 2, v25
	v_add_co_u32 v2, vcc_lo, s6, v2
	v_lshlrev_b32_e32 v82, 3, v18
	s_wait_alu 0xfffd
	v_add_co_ci_u32_e32 v3, vcc_lo, s7, v3, vcc_lo
	v_lshlrev_b32_e32 v84, 3, v21
	s_wait_dscnt 0x7
	v_lshrrev_b32_e32 v30, 16, v5
	s_wait_dscnt 0x6
	v_lshrrev_b32_e32 v80, 16, v6
	v_lshrrev_b32_e32 v81, 16, v7
	;; [unrolled: 1-line block ×3, first 2 shown]
	s_wait_dscnt 0x5
	v_lshrrev_b32_e32 v87, 16, v9
	s_wait_dscnt 0x4
	v_lshrrev_b32_e32 v88, 16, v83
	;; [unrolled: 2-line block ×3, first 2 shown]
	v_lshrrev_b32_e32 v92, 16, v11
	s_wait_dscnt 0x1
	v_lshrrev_b32_e32 v94, 16, v76
	v_lshrrev_b32_e32 v93, 16, v8
	;; [unrolled: 1-line block ×5, first 2 shown]
	s_wait_dscnt 0x0
	v_lshrrev_b32_e32 v96, 16, v79
	v_lshrrev_b32_e32 v97, 16, v78
	v_lshlrev_b32_e32 v85, 3, v31
	global_wb scope:SCOPE_SE
	s_wait_loadcnt 0x0
	s_barrier_signal -1
	s_barrier_wait -1
	global_inv scope:SCOPE_SE
	v_cmp_gt_u16_e32 vcc_lo, 18, v24
	v_mul_lo_u16 v20, 0x6d, v20
	v_mul_lo_u16 v17, 0x6d, v17
	v_and_b32_e32 v15, 0xffff, v15
	v_and_b32_e32 v16, 0xffff, v16
	;; [unrolled: 1-line block ×4, first 2 shown]
	v_lshrrev_b16 v17, 8, v17
	v_mul_u32_u24_e32 v15, 45, v15
	v_mul_u32_u24_e32 v16, 45, v16
	;; [unrolled: 1-line block ×4, first 2 shown]
	s_delay_alu instid0(VALU_DEP_4) | instskip(NEXT) | instid1(VALU_DEP_4)
	v_add_nc_u32_e32 v15, v15, v21
	v_add_nc_u32_e32 v16, v16, v31
	s_delay_alu instid0(VALU_DEP_4) | instskip(NEXT) | instid1(VALU_DEP_4)
	v_add_nc_u32_e32 v21, v14, v75
	v_add_nc_u32_e32 v18, v13, v18
	v_lshrrev_b32_e32 v119, 16, v33
	v_lshrrev_b32_e32 v128, 16, v38
	;; [unrolled: 1-line block ×10, first 2 shown]
	v_mul_f16_e32 v98, v6, v119
	v_mul_f16_e32 v99, v80, v119
	v_mul_f16_e64 v100, v87, v128
	v_mul_f16_e32 v101, v88, v125
	v_mul_f16_e64 v102, v9, v128
	v_mul_f16_e32 v103, v83, v125
	v_mul_f16_e32 v105, v7, v121
	;; [unrolled: 1-line block ×10, first 2 shown]
	v_mul_f16_e64 v132, v94, v123
	v_mul_f16_e64 v134, v77, v126
	;; [unrolled: 1-line block ×3, first 2 shown]
	v_mul_f16_e32 v112, v93, v127
	v_mul_f16_e64 v133, v95, v126
	v_fmac_f16_e32 v98, v80, v33
	v_fma_f16 v80, v83, v39, -v101
	v_fmac_f16_e32 v102, v87, v38
	v_fmac_f16_e32 v103, v88, v39
	v_fma_f16 v9, v9, v38, -v100
	v_fma_f16 v6, v6, v33, -v99
	v_fmac_f16_e32 v105, v81, v35
	v_fmac_f16_e32 v106, v30, v32
	v_fma_f16 v5, v5, v32, -v107
	v_fmac_f16_e32 v108, v89, v34
	v_fma_f16 v7, v7, v35, -v104
	v_fma_f16 v10, v10, v34, -v109
	;; [unrolled: 1-line block ×4, first 2 shown]
	v_fmac_f16_e32 v111, v92, v36
	v_fmac_f16_e32 v113, v93, v40
	v_fmac_f16_e64 v134, v95, v41
	v_fmac_f16_e64 v135, v94, v37
	v_fma_f16 v8, v8, v40, -v112
	v_fma_f16 v76, v77, v41, -v133
	v_add_f16_e32 v77, v9, v80
	v_add_f16_e32 v83, v102, v103
	v_sub_f16_e32 v87, v102, v103
	v_add_f16_e32 v88, v86, v102
	v_add_f16_e32 v93, v108, v105
	;; [unrolled: 1-line block ×8, first 2 shown]
	v_sub_f16_e32 v95, v108, v105
	v_add_f16_e64 v108, v113, v134
	v_add_f16_e32 v112, v11, v30
	v_add_f16_e64 v133, v111, v135
	v_add_f16_e32 v81, v4, v9
	v_add_f16_e32 v92, v23, v10
	v_sub_f16_e32 v10, v10, v7
	v_sub_f16_e32 v104, v106, v98
	;; [unrolled: 1-line block ×3, first 2 shown]
	v_add_f16_e32 v106, v8, v76
	v_fmac_f16_e32 v4, -0.5, v77
	v_fmac_f16_e32 v90, -0.5, v93
	v_add_f16_e32 v77, v101, v98
	v_fma_f16 v22, -0.5, v99, v22
	v_add_f16_e32 v6, v100, v6
	v_fmac_f16_e32 v91, -0.5, v102
	v_sub_f16_e32 v9, v9, v80
	v_fmac_f16_e32 v86, -0.5, v83
	v_fmac_f16_e32 v23, -0.5, v89
	v_add_f16_e32 v107, v79, v8
	v_add_f16_e32 v109, v96, v113
	v_sub_f16_e64 v110, v113, v134
	v_sub_f16_e32 v8, v8, v76
	v_add_f16_e32 v113, v78, v11
	v_sub_f16_e32 v11, v11, v30
	v_add_f16_e64 v132, v97, v111
	v_sub_f16_e64 v111, v111, v135
	v_fmac_f16_e32 v96, -0.5, v108
	v_fma_f16 v78, -0.5, v112, v78
	v_fmac_f16_e64 v97, -0.5, v133
	v_fmac_f16_e32 v79, -0.5, v106
	v_fmamk_f16 v93, v10, 0xbaee, v90
	v_fmac_f16_e32 v90, 0x3aee, v10
	v_pack_b32_f16 v6, v6, v77
	v_fmamk_f16 v10, v104, 0x3aee, v22
	v_fmamk_f16 v77, v5, 0xbaee, v91
	v_fmac_f16_e32 v22, 0xbaee, v104
	v_fmac_f16_e32 v91, 0x3aee, v5
	v_add_f16_e32 v7, v92, v7
	v_add_f16_e32 v83, v94, v105
	;; [unrolled: 1-line block ×4, first 2 shown]
	v_fmamk_f16 v88, v87, 0x3aee, v4
	v_fmac_f16_e32 v4, 0xbaee, v87
	v_fmamk_f16 v87, v9, 0xbaee, v86
	v_fmac_f16_e32 v86, 0x3aee, v9
	;; [unrolled: 2-line block ×3, first 2 shown]
	v_add_f16_e32 v30, v113, v30
	v_add_f16_e64 v89, v132, v135
	v_fmamk_f16 v95, v8, 0xbaee, v96
	v_fmac_f16_e32 v96, 0x3aee, v8
	v_fmamk_f16 v5, v111, 0x3aee, v78
	v_fmac_f16_e32 v78, 0xbaee, v111
	;; [unrolled: 2-line block ×3, first 2 shown]
	v_add_f16_e32 v76, v107, v76
	v_add_f16_e64 v92, v109, v134
	v_fmamk_f16 v94, v110, 0x3aee, v79
	v_fmac_f16_e32 v79, 0xbaee, v110
	v_pack_b32_f16 v10, v10, v77
	v_pack_b32_f16 v22, v22, v91
	;; [unrolled: 1-line block ×14, first 2 shown]
	ds_store_2addr_b32 v114, v6, v10 offset1:5
	ds_store_b32 v114, v22 offset:40
	ds_store_2addr_b32 v116, v7, v9 offset1:5
	ds_store_b32 v116, v23 offset:40
	;; [unrolled: 2-line block ×5, first 2 shown]
	global_wb scope:SCOPE_SE
	s_wait_dscnt 0x0
	s_barrier_signal -1
	s_barrier_wait -1
	global_inv scope:SCOPE_SE
	global_load_b64 v[8:9], v82, s[6:7] offset:40
	v_lshlrev_b32_e32 v10, 3, v75
	s_clause 0x3
	global_load_b64 v[2:3], v[2:3], off offset:40
	global_load_b64 v[4:5], v84, s[6:7] offset:40
	global_load_b64 v[6:7], v85, s[6:7] offset:40
	;; [unrolled: 1-line block ×3, first 2 shown]
	v_add_co_u32 v22, s2, 0xffffffee, v0
	s_wait_alu 0xf1ff
	v_add_co_ci_u32_e64 v23, null, 0, -1, s2
	v_cmp_lt_u16_e64 s2, 14, v24
	s_wait_alu 0xfffd
	v_cndmask_b32_e32 v22, v22, v27, vcc_lo
	v_lshrrev_b16 v76, 8, v20
	v_cndmask_b32_e32 v23, v23, v19, vcc_lo
	v_lshl_add_u32 v86, v16, 2, v25
	s_wait_alu 0xf1ff
	v_cndmask_b32_e64 v30, 0, 45, s2
	v_lshl_add_u32 v87, v15, 2, v25
	v_lshl_add_u32 v93, v18, 2, v25
	v_lshlrev_b64_e32 v[19:20], 3, v[22:23]
	v_sub_nc_u16 v23, v28, v17
	v_add_nc_u32_e32 v12, v12, v30
	v_lshlrev_b32_e32 v30, 3, v0
	v_lshl_add_u32 v92, v21, 2, v25
	s_add_nc_u64 s[2:3], s[4:5], 0x654
	v_lshrrev_b16 v23, 1, v23
	v_lshl_add_u32 v85, v12, 2, v25
	v_sub_nc_u16 v12, v29, v76
	v_add_co_u32 v19, vcc_lo, s6, v19
	s_delay_alu instid0(VALU_DEP_4)
	v_and_b32_e32 v23, 0x7f, v23
	s_wait_alu 0xfffd
	v_add_co_ci_u32_e32 v20, vcc_lo, s7, v20, vcc_lo
	v_lshrrev_b16 v12, 1, v12
	v_cmp_lt_u16_e32 vcc_lo, 17, v24
	v_add_nc_u16 v17, v23, v17
	s_delay_alu instid0(VALU_DEP_3) | instskip(SKIP_2) | instid1(VALU_DEP_3)
	v_and_b32_e32 v12, 0x7f, v12
	s_wait_alu 0xfffd
	v_cndmask_b32_e64 v24, 0, 0x87, vcc_lo
	v_lshrrev_b16 v75, 5, v17
	s_delay_alu instid0(VALU_DEP_3) | instskip(NEXT) | instid1(VALU_DEP_3)
	v_add_nc_u16 v12, v12, v76
	v_add_nc_u32_e32 v24, v22, v24
	s_delay_alu instid0(VALU_DEP_3) | instskip(NEXT) | instid1(VALU_DEP_3)
	v_mul_lo_u16 v23, v75, 45
	v_lshrrev_b16 v12, 5, v12
	s_delay_alu instid0(VALU_DEP_2) | instskip(NEXT) | instid1(VALU_DEP_2)
	v_sub_nc_u16 v80, v28, v23
	v_mul_lo_u16 v16, v12, 45
	ds_load_2addr_b32 v[12:13], v54 offset0:216 offset1:243
	ds_load_b32 v84, v54 offset:1512
	ds_load_2addr_b32 v[14:15], v54 offset0:108 offset1:135
	v_sub_nc_u16 v31, v29, v16
	ds_load_2addr_b32 v[16:17], v71 offset0:14 offset1:41
	ds_load_2addr_b32 v[76:77], v54 offset0:162 offset1:189
	ds_load_2addr_b32 v[78:79], v54 offset1:27
	ds_load_2addr_b32 v[82:83], v54 offset0:54 offset1:81
	v_lshlrev_b32_e32 v29, 3, v29
	v_and_b32_e32 v23, 0xff, v31
	v_and_b32_e32 v31, 0xff, v80
	ds_load_2addr_b32 v[80:81], v71 offset0:68 offset1:95
	global_wb scope:SCOPE_SE
	s_wait_loadcnt_dscnt 0x0
	s_barrier_signal -1
	v_lshlrev_b32_e32 v18, 3, v23
	v_lshlrev_b32_e32 v21, 3, v31
	s_barrier_wait -1
	global_inv scope:SCOPE_SE
	v_lshrrev_b32_e32 v88, 16, v13
	v_lshrrev_b32_e32 v89, 16, v84
	;; [unrolled: 1-line block ×25, first 2 shown]
	v_mul_f16_e64 v134, v88, v111
	v_mul_f16_e64 v135, v94, v104
	;; [unrolled: 1-line block ×20, first 2 shown]
	v_fma_f16 v16, v16, v3, -v135
	v_fma_f16 v13, v13, v8, -v134
	;; [unrolled: 1-line block ×3, first 2 shown]
	v_fmac_f16_e64 v147, v91, v2
	v_fmac_f16_e64 v137, v94, v3
	;; [unrolled: 1-line block ×3, first 2 shown]
	v_fma_f16 v15, v15, v2, -v148
	v_fmac_f16_e64 v141, v96, v4
	v_fma_f16 v17, v17, v5, -v136
	v_fma_f16 v76, v76, v4, -v139
	v_fmac_f16_e64 v133, v88, v8
	v_fmac_f16_e64 v146, v89, v9
	v_fma_f16 v77, v77, v6, -v140
	v_fma_f16 v12, v12, v10, -v142
	;; [unrolled: 1-line block ×4, first 2 shown]
	v_fmac_f16_e64 v145, v100, v10
	v_fmac_f16_e64 v151, v102, v11
	;; [unrolled: 1-line block ×4, first 2 shown]
	v_add_f16_e32 v88, v13, v84
	v_add_f16_e64 v99, v141, v138
	v_add_f16_e64 v101, v98, v147
	v_add_f16_e32 v102, v78, v15
	v_add_f16_e64 v134, v147, v137
	v_add_f16_e64 v136, v15, v16
	v_add_f16_e64 v91, v133, v146
	v_add_f16_e32 v95, v76, v17
	v_add_f16_e32 v96, v79, v76
	v_add_f16_e64 v100, v97, v141
	v_sub_f16_e64 v135, v147, v137
	v_add_f16_e64 v139, v12, v81
	v_add_f16_e64 v142, v145, v151
	;; [unrolled: 1-line block ×6, first 2 shown]
	v_add_f16_e32 v89, v14, v13
	v_sub_f16_e32 v15, v15, v16
	v_sub_f16_e32 v76, v76, v17
	v_fmac_f16_e32 v14, -0.5, v88
	v_fmac_f16_e32 v97, -0.5, v99
	v_add_f16_e64 v88, v101, v137
	v_add_f16_e32 v16, v102, v16
	v_fmac_f16_e64 v98, -0.5, v134
	v_fma_f16 v78, -0.5, v136, v78
	v_add_f16_e64 v94, v90, v133
	v_sub_f16_e64 v140, v141, v138
	v_sub_f16_e32 v13, v13, v84
	v_fmac_f16_e32 v90, -0.5, v91
	v_fmac_f16_e32 v79, -0.5, v95
	v_add_f16_e64 v141, v83, v12
	v_add_f16_e64 v144, v103, v145
	v_sub_f16_e32 v77, v77, v80
	v_sub_f16_e64 v143, v143, v152
	v_sub_f16_e32 v12, v12, v81
	v_sub_f16_e64 v145, v145, v151
	v_sub_f16_e64 v133, v133, v146
	v_add_f16_e32 v17, v96, v17
	v_add_f16_e64 v91, v100, v138
	v_fmac_f16_e64 v83, -0.5, v139
	v_fmac_f16_e64 v103, -0.5, v142
	v_add_f16_e64 v80, v147, v80
	v_add_f16_e64 v95, v149, v152
	v_fmac_f16_e64 v132, -0.5, v150
	v_fma_f16 v82, -0.5, v148, v82
	v_fmamk_f16 v100, v76, 0xbaee, v97
	v_fmac_f16_e32 v97, 0x3aee, v76
	v_pack_b32_f16 v16, v16, v88
	v_fma_f16 v76, 0x3aee, v135, v78
	v_fmamk_f16 v88, v15, 0xbaee, v98
	v_fmac_f16_e64 v78, 0xbaee, v135
	v_fmac_f16_e32 v98, 0x3aee, v15
	v_fmamk_f16 v99, v13, 0xbaee, v90
	v_fmac_f16_e32 v90, 0x3aee, v13
	v_fma_f16 v13, 0x3aee, v140, v79
	v_fmac_f16_e64 v79, 0xbaee, v140
	v_add_f16_e32 v84, v89, v84
	v_add_f16_e64 v89, v94, v146
	v_fma_f16 v94, 0x3aee, v133, v14
	v_fmac_f16_e64 v14, 0xbaee, v133
	v_pack_b32_f16 v15, v17, v91
	v_fma_f16 v17, 0x3aee, v145, v83
	v_fmamk_f16 v91, v12, 0xbaee, v103
	v_fmac_f16_e32 v103, 0x3aee, v12
	v_pack_b32_f16 v12, v80, v95
	v_fma_f16 v80, 0x3aee, v143, v82
	v_fma_f16 v95, 0xbaee, v77, v132
	v_add_f16_e64 v81, v141, v81
	v_add_f16_e64 v96, v144, v151
	v_fmac_f16_e64 v83, 0xbaee, v145
	v_fmac_f16_e64 v82, 0xbaee, v143
	;; [unrolled: 1-line block ×3, first 2 shown]
	v_pack_b32_f16 v76, v76, v88
	v_pack_b32_f16 v78, v78, v98
	v_pack_b32_f16 v13, v13, v100
	v_pack_b32_f16 v79, v79, v97
	v_pack_b32_f16 v14, v14, v90
	v_pack_b32_f16 v80, v80, v95
	v_pack_b32_f16 v17, v17, v91
	v_pack_b32_f16 v77, v81, v96
	v_pack_b32_f16 v81, v84, v89
	v_pack_b32_f16 v83, v83, v103
	v_pack_b32_f16 v82, v82, v132
	v_pack_b32_f16 v84, v94, v99
	ds_store_2addr_b32 v85, v16, v76 offset1:15
	ds_store_b32 v85, v78 offset:120
	ds_store_2addr_b32 v87, v15, v13 offset1:15
	ds_store_b32 v87, v79 offset:120
	;; [unrolled: 2-line block ×5, first 2 shown]
	global_wb scope:SCOPE_SE
	s_wait_dscnt 0x0
	s_barrier_signal -1
	s_barrier_wait -1
	global_inv scope:SCOPE_SE
	s_clause 0x4
	global_load_b64 v[16:17], v18, s[6:7] offset:160
	global_load_b64 v[12:13], v30, s[6:7] offset:160
	global_load_b64 v[14:15], v[19:20], off offset:160
	global_load_b64 v[18:19], v21, s[6:7] offset:160
	global_load_b64 v[20:21], v30, s[6:7] offset:232
	v_and_b32_e32 v79, 0xffff, v75
	ds_load_b32 v133, v54 offset:1512
	ds_load_2addr_b32 v[75:76], v54 offset0:216 offset1:243
	ds_load_2addr_b32 v[77:78], v54 offset0:108 offset1:135
	v_lshlrev_b32_e32 v132, 3, v27
	v_lshlrev_b32_e32 v134, 3, v26
	ds_load_2addr_b32 v[26:27], v54 offset0:162 offset1:189
	v_mul_u32_u24_e32 v81, 0x87, v79
	ds_load_2addr_b32 v[79:80], v71 offset0:14 offset1:41
	v_lshl_add_u32 v88, v23, 2, v25
	ds_load_2addr_b32 v[22:23], v54 offset1:27
	ds_load_2addr_b32 v[83:84], v54 offset0:54 offset1:81
	v_add_nc_u32_e32 v31, v81, v31
	ds_load_2addr_b32 v[81:82], v71 offset0:68 offset1:95
	v_lshl_add_u32 v91, v24, 2, v25
	v_add_nc_u32_e32 v90, 0x400, v88
	global_wb scope:SCOPE_SE
	s_wait_loadcnt_dscnt 0x0
	v_lshl_add_u32 v89, v31, 2, v25
	s_barrier_signal -1
	s_barrier_wait -1
	global_inv scope:SCOPE_SE
	v_lshrrev_b32_e32 v24, 16, v133
	v_lshrrev_b32_e32 v140, 16, v75
	;; [unrolled: 1-line block ×24, first 2 shown]
	v_mul_f16_e64 v153, v136, v95
	v_mul_f16_e64 v154, v137, v97
	v_lshrrev_b32_e32 v102, 16, v20
	v_mul_f16_e64 v149, v133, v96
	v_mul_f16_e64 v150, v76, v99
	;; [unrolled: 1-line block ×8, first 2 shown]
	v_fma_f16 v79, v79, v13, -v153
	v_fma_f16 v80, v80, v15, -v154
	v_mul_f16_e64 v153, v141, v103
	v_mul_f16_e64 v154, v142, v101
	;; [unrolled: 1-line block ×6, first 2 shown]
	v_fmac_f16_e64 v149, v24, v17
	v_mul_f16_e32 v24, v82, v101
	v_fmac_f16_e64 v150, v25, v16
	v_fma_f16 v26, v26, v14, -v156
	v_mul_f16_e64 v148, v25, v99
	v_mul_f16_e64 v158, v139, v102
	v_fma_f16 v133, v133, v17, -v147
	v_mul_f16_e64 v147, v81, v103
	v_fma_f16 v25, v78, v12, -v151
	v_fma_f16 v75, v75, v18, -v161
	;; [unrolled: 1-line block ×4, first 2 shown]
	v_fmac_f16_e64 v152, v135, v12
	v_fmac_f16_e64 v155, v136, v13
	;; [unrolled: 1-line block ×7, first 2 shown]
	v_add_f16_e64 v136, v150, v149
	v_add_f16_e64 v139, v26, v80
	v_fma_f16 v76, v76, v16, -v148
	v_fma_f16 v27, v27, v20, -v158
	v_fmac_f16_e64 v147, v141, v21
	v_add_f16_e64 v153, v75, v81
	v_add_f16_e64 v137, v31, v150
	v_sub_f16_e64 v138, v150, v149
	v_add_f16_e64 v140, v23, v26
	v_add_f16_e64 v141, v159, v157
	;; [unrolled: 1-line block ×5, first 2 shown]
	v_fmac_f16_e64 v31, -0.5, v136
	v_add_f16_e64 v136, v144, v152
	v_fmac_f16_e64 v23, -0.5, v139
	v_add_f16_e64 v139, v152, v155
	v_add_f16_e64 v82, v76, v133
	;; [unrolled: 1-line block ×5, first 2 shown]
	v_fmac_f16_e64 v84, -0.5, v153
	v_add_f16_e64 v153, v160, v147
	v_add_f16_e64 v158, v145, v162
	v_sub_f16_e32 v75, v75, v81
	v_sub_f16_e64 v152, v152, v155
	v_sub_f16_e32 v25, v25, v79
	v_fmac_f16_e64 v143, -0.5, v141
	v_add_f16_e64 v141, v146, v160
	v_fma_f16 v22, -0.5, v150, v22
	v_fmac_f16_e64 v145, -0.5, v156
	v_add_f16_e64 v136, v136, v155
	v_add_f16_e64 v79, v151, v79
	v_fmac_f16_e64 v144, -0.5, v139
	v_add_f16_e64 v135, v77, v76
	v_sub_f16_e64 v76, v76, v133
	v_sub_f16_e64 v148, v159, v157
	v_sub_f16_e32 v26, v26, v80
	v_fmac_f16_e32 v77, -0.5, v82
	v_add_f16_e32 v82, v83, v27
	v_sub_f16_e64 v160, v160, v147
	v_sub_f16_e32 v27, v27, v78
	v_fma_f16 v83, -0.5, v161, v83
	v_add_f16_e64 v80, v140, v80
	v_add_f16_e64 v139, v142, v157
	v_fmac_f16_e64 v146, -0.5, v153
	v_sub_f16_e64 v159, v162, v24
	v_add_f16_e64 v140, v141, v147
	v_fma_f16 v141, 0xbaee, v75, v145
	v_fmac_f16_e64 v145, 0x3aee, v75
	v_pack_b32_f16 v75, v79, v136
	v_fma_f16 v79, 0x3aee, v152, v22
	v_fma_f16 v136, 0xbaee, v25, v144
	v_fmac_f16_e64 v22, 0xbaee, v152
	v_fmac_f16_e64 v144, 0x3aee, v25
	v_add_f16_e32 v78, v82, v78
	v_add_f16_e64 v82, v135, v133
	v_add_f16_e64 v133, v137, v149
	v_fma_f16 v135, 0x3aee, v138, v77
	v_fmac_f16_e64 v77, 0xbaee, v138
	v_fma_f16 v137, 0xbaee, v76, v31
	v_fmac_f16_e32 v31, 0x3aee, v76
	v_fma_f16 v76, 0x3aee, v148, v23
	v_fma_f16 v138, 0xbaee, v26, v143
	v_fmac_f16_e64 v23, 0xbaee, v148
	v_fmac_f16_e64 v143, 0x3aee, v26
	v_add_f16_e64 v81, v154, v81
	v_add_f16_e64 v24, v158, v24
	v_pack_b32_f16 v25, v80, v139
	v_fma_f16 v80, 0x3aee, v160, v83
	v_fma_f16 v139, 0xbaee, v27, v146
	;; [unrolled: 1-line block ×3, first 2 shown]
	v_fmac_f16_e64 v84, 0xbaee, v159
	v_fmac_f16_e64 v83, 0xbaee, v160
	v_fmac_f16_e64 v146, 0x3aee, v27
	v_pack_b32_f16 v79, v79, v136
	v_pack_b32_f16 v22, v22, v144
	;; [unrolled: 1-line block ×13, first 2 shown]
	ds_store_2addr_b32 v54, v75, v79 offset1:45
	ds_store_b32 v54, v22 offset:360
	ds_store_2addr_b32 v91, v25, v76 offset1:45
	ds_store_b32 v91, v23 offset:360
	ds_store_2addr_b32 v54, v78, v80 offset0:144 offset1:189
	ds_store_b32 v54, v81 offset:936
	ds_store_2addr_b32 v89, v24, v26 offset1:45
	ds_store_b32 v89, v77 offset:360
	ds_store_2addr_b32 v90, v27, v82 offset0:14 offset1:59
	ds_store_b32 v88, v31 offset:1440
	v_lshlrev_b32_e32 v24, 3, v28
	global_wb scope:SCOPE_SE
	s_wait_dscnt 0x0
	s_barrier_signal -1
	s_barrier_wait -1
	global_inv scope:SCOPE_SE
	s_clause 0x4
	global_load_b64 v[22:23], v29, s[6:7] offset:520
	global_load_b64 v[30:31], v30, s[6:7] offset:520
	;; [unrolled: 1-line block ×5, first 2 shown]
	ds_load_b32 v84, v54 offset:1512
	ds_load_2addr_b32 v[132:133], v54 offset0:216 offset1:243
	ds_load_2addr_b32 v[134:135], v71 offset0:14 offset1:41
	ds_load_2addr_b32 v[136:137], v54 offset0:162 offset1:189
	ds_load_2addr_b32 v[138:139], v71 offset0:68 offset1:95
	ds_load_2addr_b32 v[140:141], v54 offset0:108 offset1:135
	ds_load_2addr_b32 v[142:143], v54 offset1:27
	s_wait_dscnt 0x6
	v_lshrrev_b32_e32 v144, 16, v84
	s_wait_dscnt 0x5
	v_lshrrev_b32_e32 v145, 16, v133
	;; [unrolled: 2-line block ×4, first 2 shown]
	v_lshrrev_b32_e32 v149, 16, v137
	v_lshrrev_b32_e32 v147, 16, v135
	s_wait_dscnt 0x2
	v_lshrrev_b32_e32 v151, 16, v138
	v_lshrrev_b32_e32 v152, 16, v139
	;; [unrolled: 1-line block ×3, first 2 shown]
	s_wait_loadcnt 0x3
	v_lshrrev_b32_e32 v82, 16, v31
	s_wait_loadcnt 0x2
	v_lshrrev_b32_e32 v83, 16, v28
	;; [unrolled: 2-line block ×3, first 2 shown]
	v_lshrrev_b32_e32 v75, 16, v23
	v_lshrrev_b32_e32 v79, 16, v29
	;; [unrolled: 1-line block ×3, first 2 shown]
	s_wait_loadcnt 0x0
	v_lshrrev_b32_e32 v78, 16, v25
	v_mul_f16_e64 v156, v146, v82
	v_mul_f16_e64 v161, v148, v83
	;; [unrolled: 1-line block ×3, first 2 shown]
	v_lshrrev_b32_e32 v76, 16, v22
	v_lshrrev_b32_e32 v77, 16, v24
	v_mul_f16_e64 v153, v144, v75
	v_mul_f16_e64 v157, v147, v79
	;; [unrolled: 1-line block ×4, first 2 shown]
	v_fma_f16 v134, v134, v31, -v156
	v_mul_f16_e64 v156, v137, v80
	v_fma_f16 v136, v136, v28, -v161
	v_fma_f16 v137, v137, v26, -v162
	v_mul_f16_e64 v161, v151, v81
	v_mul_f16_e64 v162, v152, v78
	;; [unrolled: 1-line block ×4, first 2 shown]
	v_fma_f16 v135, v135, v29, -v157
	v_mul_f16_e64 v157, v150, v77
	v_mul_f16_e64 v164, v138, v81
	v_fma_f16 v138, v138, v27, -v161
	v_fma_f16 v161, v139, v25, -v162
	v_mul_f16_e64 v162, v84, v75
	v_fma_f16 v153, v84, v23, -v153
	v_lshrrev_b32_e32 v84, 16, v30
	v_mul_f16_e64 v155, v133, v76
	v_fma_f16 v154, v133, v22, -v154
	v_fma_f16 v157, v132, v24, -v157
	v_mul_f16_e64 v163, v132, v77
	s_wait_dscnt 0x1
	v_lshrrev_b32_e32 v132, 16, v141
	v_mul_f16_e64 v133, v141, v84
	v_fmac_f16_e64 v162, v144, v23
	v_fmac_f16_e64 v155, v145, v22
	v_fmac_f16_e64 v159, v147, v29
	v_fmac_f16_e64 v160, v148, v28
	v_fmac_f16_e64 v133, v132, v30
	v_mul_f16_e64 v132, v132, v84
	v_fmac_f16_e64 v158, v146, v31
	v_lshrrev_b32_e32 v144, 16, v140
	s_wait_dscnt 0x0
	v_lshrrev_b32_e32 v145, 16, v143
	v_fmac_f16_e64 v156, v149, v26
	v_fma_f16 v132, v141, v30, -v132
	v_add_f16_e64 v141, v154, v153
	v_add_f16_e64 v146, v140, v154
	;; [unrolled: 1-line block ×5, first 2 shown]
	v_fmac_f16_e64 v140, -0.5, v141
	v_add_f16_e64 v141, v160, v159
	v_fmac_f16_e64 v144, -0.5, v147
	v_add_f16_e64 v147, v143, v136
	;; [unrolled: 2-line block ×4, first 2 shown]
	v_mul_f16_e64 v139, v139, v78
	v_fmac_f16_e64 v164, v151, v27
	v_fmac_f16_e64 v163, v150, v24
	v_add_f16_e64 v150, v132, v134
	v_sub_f16_e64 v151, v132, v134
	v_add_f16_e64 v134, v141, v134
	v_lshrrev_b32_e32 v141, 16, v142
	v_add_f16_e64 v132, v133, v158
	v_fmac_f16_e64 v139, v152, v25
	v_sub_f16_e64 v165, v133, v158
	v_sub_f16_e64 v136, v136, v135
	v_add_f16_e64 v152, v141, v133
	v_fmac_f16_e64 v141, -0.5, v132
	ds_load_2addr_b32 v[132:133], v54 offset0:54 offset1:81
	v_add_f16_e64 v135, v147, v135
	v_sub_f16_e64 v147, v160, v159
	v_add_f16_e64 v152, v152, v158
	v_add_f16_e64 v158, v157, v161
	;; [unrolled: 1-line block ×3, first 2 shown]
	v_sub_f16_e64 v154, v154, v153
	v_add_f16_e64 v146, v146, v153
	v_sub_f16_e64 v153, v155, v162
	v_add_f16_e64 v167, v156, v164
	v_add_f16_e64 v169, v137, v138
	v_pack_b32_f16 v134, v134, v152
	v_add_f16_e64 v148, v148, v162
	v_fma_f16 v155, 0x3aee, v153, v140
	v_fmac_f16_e64 v140, 0xbaee, v153
	v_fma_f16 v153, 0xbaee, v154, v144
	v_fmac_f16_e64 v144, 0x3aee, v154
	;; [unrolled: 2-line block ×3, first 2 shown]
	v_fma_f16 v147, 0xbaee, v136, v145
	s_wait_dscnt 0x0
	v_lshrrev_b32_e32 v159, 16, v133
	v_add_f16_e64 v160, v133, v157
	v_fmac_f16_e64 v133, -0.5, v158
	v_add_f16_e64 v158, v163, v139
	v_fmac_f16_e64 v145, 0x3aee, v136
	v_add_f16_e64 v166, v159, v163
	v_fma_f16 v136, -0.5, v150, v142
	v_sub_f16_e64 v157, v157, v161
	v_fmac_f16_e64 v159, -0.5, v158
	v_lshrrev_b32_e32 v158, 16, v132
	v_add_f16_e64 v160, v160, v161
	v_sub_f16_e64 v161, v163, v139
	v_fma_f16 v142, 0x3aee, v165, v136
	v_fma_f16 v150, 0xbaee, v151, v141
	v_add_f16_e64 v168, v158, v156
	v_fmac_f16_e64 v158, -0.5, v167
	v_add_f16_e64 v167, v132, v137
	v_sub_f16_e64 v137, v137, v138
	v_sub_f16_e64 v156, v156, v164
	v_fma_f16 v132, -0.5, v169, v132
	v_fmac_f16_e64 v136, 0xbaee, v165
	v_fmac_f16_e64 v141, 0x3aee, v151
	v_add_f16_e64 v138, v167, v138
	v_add_f16_e64 v164, v168, v164
	v_fma_f16 v152, 0x3aee, v156, v132
	v_fmac_f16_e64 v132, 0xbaee, v156
	v_fma_f16 v156, 0xbaee, v137, v158
	v_fmac_f16_e64 v158, 0x3aee, v137
	v_add_f16_e64 v139, v166, v139
	v_pack_b32_f16 v135, v135, v149
	v_fma_f16 v149, 0x3aee, v161, v133
	v_fmac_f16_e64 v133, 0xbaee, v161
	v_fma_f16 v151, 0xbaee, v157, v159
	v_fmac_f16_e64 v159, 0x3aee, v157
	v_pack_b32_f16 v142, v142, v150
	v_pack_b32_f16 v136, v136, v141
	;; [unrolled: 1-line block ×13, first 2 shown]
	ds_store_b32 v54, v142 offset:540
	ds_store_b32 v54, v136 offset:1080
	ds_store_2addr_b32 v54, v134, v135 offset1:27
	ds_store_2addr_b32 v54, v141, v144 offset0:162 offset1:189
	ds_store_2addr_b32 v71, v143, v132 offset0:41 offset1:68
	;; [unrolled: 1-line block ×3, first 2 shown]
	ds_store_b32 v54, v133 offset:1404
	ds_store_b32 v54, v139 offset:432
	ds_store_2addr_b32 v54, v145, v146 offset0:216 offset1:243
	ds_store_b32 v54, v140 offset:1512
	global_wb scope:SCOPE_SE
	s_wait_dscnt 0x0
	s_barrier_signal -1
	s_barrier_wait -1
	global_inv scope:SCOPE_SE
	s_clause 0xe
	global_load_b32 v142, v74, s[4:5] offset:1620
	global_load_b32 v143, v74, s[2:3] offset:108
	global_load_b32 v144, v74, s[2:3] offset:648
	global_load_b32 v145, v74, s[2:3] offset:756
	global_load_b32 v146, v74, s[2:3] offset:1296
	global_load_b32 v147, v74, s[2:3] offset:1404
	global_load_b32 v148, v74, s[2:3] offset:324
	global_load_b32 v149, v74, s[2:3] offset:432
	global_load_b32 v150, v74, s[2:3] offset:864
	global_load_b32 v151, v74, s[2:3] offset:540
	global_load_b32 v152, v74, s[2:3] offset:216
	global_load_b32 v153, v74, s[2:3] offset:972
	global_load_b32 v154, v74, s[2:3] offset:1080
	global_load_b32 v155, v74, s[2:3] offset:1512
	global_load_b32 v74, v74, s[2:3] offset:1188
	ds_load_2addr_b32 v[132:133], v54 offset1:27
	ds_load_2addr_b32 v[134:135], v54 offset0:162 offset1:189
	ds_load_2addr_b32 v[136:137], v71 offset0:68 offset1:95
	;; [unrolled: 1-line block ×4, first 2 shown]
	s_wait_dscnt 0x4
	v_lshrrev_b32_e32 v157, 16, v132
	v_lshrrev_b32_e32 v158, 16, v133
	s_wait_dscnt 0x3
	v_lshrrev_b32_e32 v161, 16, v134
	s_wait_loadcnt 0xd
	v_lshrrev_b32_e32 v159, 16, v143
	s_delay_alu instid0(VALU_DEP_1) | instskip(SKIP_1) | instid1(VALU_DEP_1)
	v_mul_f16_e64 v162, v158, v159
	v_lshrrev_b32_e32 v156, 16, v142
	v_mul_f16_e64 v160, v132, v156
	v_mul_f16_e64 v156, v157, v156
	s_delay_alu instid0(VALU_DEP_2) | instskip(SKIP_2) | instid1(VALU_DEP_3)
	v_fmac_f16_e64 v160, v157, v142
	s_wait_loadcnt 0xc
	v_lshrrev_b32_e32 v157, 16, v144
	v_fma_f16 v142, v132, v142, -v156
	v_lshrrev_b32_e32 v132, 16, v135
	v_mul_f16_e64 v156, v133, v159
	v_fma_f16 v159, v133, v143, -v162
	s_wait_loadcnt 0xb
	v_lshrrev_b32_e32 v133, 16, v145
	v_mul_f16_e64 v162, v134, v157
	v_mul_f16_e64 v157, v161, v157
	v_fmac_f16_e64 v156, v158, v143
	s_wait_dscnt 0x2
	v_lshrrev_b32_e32 v143, 16, v136
	v_mul_f16_e64 v158, v132, v133
	v_fmac_f16_e64 v162, v161, v144
	s_wait_loadcnt 0xa
	v_lshrrev_b32_e32 v161, 16, v146
	v_fma_f16 v134, v134, v144, -v157
	v_lshrrev_b32_e32 v144, 16, v137
	v_mul_f16_e64 v157, v135, v133
	v_fma_f16 v135, v135, v145, -v158
	s_wait_loadcnt 0x9
	v_lshrrev_b32_e32 v133, 16, v147
	v_mul_f16_e64 v158, v136, v161
	v_mul_f16_e64 v161, v143, v161
	v_fmac_f16_e64 v157, v132, v145
	s_wait_dscnt 0x1
	v_lshrrev_b32_e32 v132, 16, v139
	v_mul_f16_e64 v145, v144, v133
	;; [unrolled: 15-line block ×3, first 2 shown]
	v_fmac_f16_e64 v163, v132, v148
	ds_load_2addr_b32 v[132:133], v54 offset0:216 offset1:243
	v_mul_f16_e64 v145, v138, v145
	v_fma_f16 v139, v139, v148, -v143
	v_lshrrev_b32_e32 v143, 16, v149
	v_fma_f16 v138, v138, v152, -v144
	v_lshrrev_b32_e32 v144, 16, v140
	v_fmac_f16_e64 v145, v146, v152
	v_lshrrev_b32_e32 v148, 16, v151
	v_mul_f16_e64 v146, v140, v143
	s_wait_loadcnt 0x2
	v_lshrrev_b32_e32 v152, 16, v154
	v_mul_f16_e64 v143, v144, v143
	v_pack_b32_f16 v134, v134, v162
	v_pack_b32_f16 v135, v135, v157
	v_fmac_f16_e64 v146, v144, v149
	v_mul_f16_e64 v144, v147, v148
	v_mul_f16_e64 v148, v141, v148
	v_fma_f16 v140, v140, v149, -v143
	v_lshrrev_b32_e32 v143, 16, v153
	v_pack_b32_f16 v136, v136, v158
	v_fma_f16 v141, v141, v151, -v144
	s_wait_dscnt 0x0
	v_lshrrev_b32_e32 v144, 16, v133
	v_lshrrev_b32_e32 v149, 16, v132
	v_fmac_f16_e64 v148, v147, v151
	v_mul_f16_e64 v147, v133, v143
	v_lshrrev_b32_e32 v151, 16, v150
	v_mul_f16_e64 v143, v144, v143
	v_pack_b32_f16 v137, v137, v161
	v_pack_b32_f16 v139, v139, v163
	v_fmac_f16_e64 v147, v144, v153
	v_mul_f16_e64 v144, v149, v151
	v_mul_f16_e64 v151, v132, v151
	v_fma_f16 v143, v133, v153, -v143
	v_pack_b32_f16 v138, v138, v145
	v_pack_b32_f16 v140, v140, v146
	v_fma_f16 v144, v132, v150, -v144
	ds_load_2addr_b32 v[132:133], v71 offset0:14 offset1:41
	v_fmac_f16_e64 v151, v149, v150
	v_pack_b32_f16 v141, v141, v148
	v_pack_b32_f16 v143, v143, v147
	s_delay_alu instid0(VALU_DEP_3) | instskip(SKIP_3) | instid1(VALU_DEP_2)
	v_pack_b32_f16 v144, v144, v151
	s_wait_dscnt 0x0
	v_lshrrev_b32_e32 v149, 16, v132
	v_mul_f16_e64 v150, v132, v152
	v_mul_f16_e64 v152, v149, v152
	s_delay_alu instid0(VALU_DEP_2) | instskip(SKIP_1) | instid1(VALU_DEP_3)
	v_fmac_f16_e64 v150, v149, v154
	v_lshrrev_b32_e32 v149, 16, v133
	v_fma_f16 v132, v132, v154, -v152
	s_wait_loadcnt 0x0
	v_lshrrev_b32_e32 v152, 16, v74
	s_delay_alu instid0(VALU_DEP_2) | instskip(NEXT) | instid1(VALU_DEP_2)
	v_pack_b32_f16 v132, v132, v150
	v_mul_f16_e64 v153, v149, v152
	v_mul_f16_e64 v152, v133, v152
	s_delay_alu instid0(VALU_DEP_2) | instskip(SKIP_3) | instid1(VALU_DEP_2)
	v_fma_f16 v133, v133, v74, -v153
	ds_load_b32 v153, v54 offset:1512
	v_fmac_f16_e64 v152, v149, v74
	v_lshrrev_b32_e32 v149, 16, v155
	v_pack_b32_f16 v133, v133, v152
	s_wait_dscnt 0x0
	v_lshrrev_b32_e32 v74, 16, v153
	s_delay_alu instid0(VALU_DEP_1) | instskip(SKIP_1) | instid1(VALU_DEP_2)
	v_mul_f16_e64 v154, v74, v149
	v_mul_f16_e64 v149, v153, v149
	v_fma_f16 v153, v153, v155, -v154
	s_delay_alu instid0(VALU_DEP_2) | instskip(SKIP_2) | instid1(VALU_DEP_3)
	v_fmac_f16_e64 v149, v74, v155
	v_pack_b32_f16 v74, v142, v160
	v_pack_b32_f16 v142, v159, v156
	;; [unrolled: 1-line block ×3, first 2 shown]
	ds_store_2addr_b32 v54, v74, v142 offset1:27
	ds_store_2addr_b32 v54, v134, v135 offset0:162 offset1:189
	ds_store_2addr_b32 v71, v136, v137 offset0:68 offset1:95
	;; [unrolled: 1-line block ×6, first 2 shown]
	ds_store_b32 v54, v145 offset:1512
	global_wb scope:SCOPE_SE
	s_wait_dscnt 0x0
	s_barrier_signal -1
	s_barrier_wait -1
	global_inv scope:SCOPE_SE
	ds_load_2addr_b32 v[132:133], v54 offset0:162 offset1:189
	ds_load_2addr_b32 v[134:135], v54 offset0:54 offset1:81
	;; [unrolled: 1-line block ×4, first 2 shown]
	ds_load_2addr_b32 v[140:141], v54 offset1:27
	ds_load_2addr_b32 v[142:143], v71 offset0:14 offset1:41
	ds_load_2addr_b32 v[144:145], v54 offset0:108 offset1:135
	ds_load_b32 v74, v54 offset:1512
	global_wb scope:SCOPE_SE
	s_wait_dscnt 0x0
	s_barrier_signal -1
	s_barrier_wait -1
	global_inv scope:SCOPE_SE
	v_pk_add_f16 v146, v135, v132 neg_lo:[0,1] neg_hi:[0,1]
	v_pk_add_f16 v152, v135, v136
	v_pk_add_f16 v148, v132, v139
	;; [unrolled: 1-line block ×5, first 2 shown]
	v_pk_add_f16 v149, v135, v136 neg_lo:[0,1] neg_hi:[0,1]
	v_pk_add_f16 v150, v132, v139 neg_lo:[0,1] neg_hi:[0,1]
	;; [unrolled: 1-line block ×3, first 2 shown]
	v_pk_add_f16 v156, v141, v144
	v_pk_fma_f16 v148, v148, 0.5, v140 op_sel_hi:[1,0,1] neg_lo:[1,0,0] neg_hi:[1,0,0]
	v_pk_fma_f16 v140, v152, 0.5, v140 op_sel_hi:[1,0,1] neg_lo:[1,0,0] neg_hi:[1,0,0]
	;; [unrolled: 1-line block ×4, first 2 shown]
	v_pk_add_f16 v154, v138, v143
	v_pk_add_f16 v155, v145, v74
	;; [unrolled: 1-line block ×3, first 2 shown]
	v_pk_add_f16 v147, v136, v139 neg_lo:[0,1] neg_hi:[0,1]
	v_pk_add_f16 v153, v139, v136 neg_lo:[0,1] neg_hi:[0,1]
	;; [unrolled: 1-line block ×7, first 2 shown]
	v_pk_add_f16 v133, v156, v133
	v_pk_add_f16 v151, v142, v137 neg_lo:[0,1] neg_hi:[0,1]
	v_pk_add_f16 v156, v134, v145
	v_pk_fma_f16 v154, v154, 0.5, v134 op_sel_hi:[1,0,1] neg_lo:[1,0,0] neg_hi:[1,0,0]
	v_pk_fma_f16 v134, v155, 0.5, v134 op_sel_hi:[1,0,1] neg_lo:[1,0,0] neg_hi:[1,0,0]
	v_pk_add_f16 v155, v145, v74 neg_lo:[0,1] neg_hi:[0,1]
	v_pk_add_f16 v161, v145, v138 neg_lo:[0,1] neg_hi:[0,1]
	v_pk_add_f16 v132, v132, v139
	v_pk_add_f16 v139, v74, v143 neg_lo:[0,1] neg_hi:[0,1]
	v_pk_add_f16 v145, v138, v145 neg_lo:[0,1] neg_hi:[0,1]
	;; [unrolled: 1-line block ×3, first 2 shown]
	v_pk_add_f16 v138, v156, v138
	v_pk_add_f16 v156, v143, v74 neg_lo:[0,1] neg_hi:[0,1]
	v_pk_add_f16 v146, v146, v147
	v_pk_mul_f16 v147, 0x3b9c, v149 op_sel_hi:[0,1]
	v_pk_add_f16 v135, v135, v153
	v_pk_mul_f16 v153, 0x38b4, v150 op_sel_hi:[0,1]
	v_pk_mul_f16 v150, 0x3b9c, v150 op_sel_hi:[0,1]
	v_pk_add_f16 v157, v157, v158
	v_pk_mul_f16 v158, 0x3b9c, v159 op_sel_hi:[0,1]
	v_pk_add_f16 v144, v144, v151
	v_pk_mul_f16 v151, 0x38b4, v160 op_sel_hi:[0,1]
	v_pk_mul_f16 v160, 0x3b9c, v160 op_sel_hi:[0,1]
	v_pk_add_f16 v139, v161, v139
	v_pk_mul_f16 v161, 0x3b9c, v155 op_sel_hi:[0,1]
	v_pk_add_f16 v145, v145, v156
	v_pk_add_f16 v156, v148, v147 op_sel:[0,1] op_sel_hi:[1,0] neg_lo:[0,1] neg_hi:[0,1]
	v_pk_add_f16 v147, v148, v147 op_sel:[0,1] op_sel_hi:[1,0]
	v_pk_add_f16 v148, v140, v150 op_sel:[0,1] op_sel_hi:[1,0]
	v_pk_add_f16 v140, v140, v150 op_sel:[0,1] op_sel_hi:[1,0] neg_lo:[0,1] neg_hi:[0,1]
	v_pk_add_f16 v150, v152, v158 op_sel:[0,1] op_sel_hi:[1,0] neg_lo:[0,1] neg_hi:[0,1]
	v_pk_add_f16 v152, v152, v158 op_sel:[0,1] op_sel_hi:[1,0]
	v_pk_add_f16 v158, v141, v160 op_sel:[0,1] op_sel_hi:[1,0]
	v_pk_add_f16 v141, v141, v160 op_sel:[0,1] op_sel_hi:[1,0] neg_lo:[0,1] neg_hi:[0,1]
	v_pk_add_f16 v160, v154, v161 op_sel:[0,1] op_sel_hi:[1,0] neg_lo:[0,1] neg_hi:[0,1]
	v_pk_add_f16 v154, v154, v161 op_sel:[0,1] op_sel_hi:[1,0]
	v_pk_mul_f16 v161, 0x3b9c, v162 op_sel_hi:[0,1]
	v_pk_mul_f16 v149, 0x38b4, v149 op_sel_hi:[0,1]
	;; [unrolled: 1-line block ×5, first 2 shown]
	v_pk_add_f16 v133, v133, v142
	v_pk_add_f16 v138, v138, v143
	v_pk_add_f16 v142, v134, v161 op_sel:[0,1] op_sel_hi:[1,0]
	v_pk_add_f16 v134, v134, v161 op_sel:[0,1] op_sel_hi:[1,0] neg_lo:[0,1] neg_hi:[0,1]
	v_pk_add_f16 v143, v156, v153 op_sel:[0,1] op_sel_hi:[1,0] neg_lo:[0,1] neg_hi:[0,1]
	v_pk_add_f16 v147, v147, v153 op_sel:[0,1] op_sel_hi:[1,0]
	v_pk_add_f16 v132, v132, v136
	v_pk_add_f16 v136, v148, v149 op_sel:[0,1] op_sel_hi:[1,0] neg_lo:[0,1] neg_hi:[0,1]
	v_pk_add_f16 v140, v140, v149 op_sel:[0,1] op_sel_hi:[1,0]
	v_pk_add_f16 v148, v150, v151 op_sel:[0,1] op_sel_hi:[1,0] neg_lo:[0,1] neg_hi:[0,1]
	v_pk_add_f16 v149, v152, v151 op_sel:[0,1] op_sel_hi:[1,0]
	v_pk_add_f16 v133, v133, v137
	v_pk_add_f16 v137, v158, v159 op_sel:[0,1] op_sel_hi:[1,0] neg_lo:[0,1] neg_hi:[0,1]
	v_pk_add_f16 v141, v141, v159 op_sel:[0,1] op_sel_hi:[1,0]
	;; [unrolled: 5-line block ×3, first 2 shown]
	v_bfi_b32 v142, 0xffff, v143, v147
	v_bfi_b32 v152, 0xffff, v136, v140
	;; [unrolled: 1-line block ×12, first 2 shown]
	v_pk_fma_f16 v142, 0x34f2, v146, v142 op_sel_hi:[0,1,1]
	v_pk_fma_f16 v150, 0x34f2, v135, v152 op_sel_hi:[0,1,1]
	;; [unrolled: 1-line block ×12, first 2 shown]
	ds_store_2addr_b32 v129, v132, v142 offset1:1
	ds_store_2addr_b32 v129, v150, v135 offset0:2 offset1:3
	ds_store_b32 v129, v136 offset:16
	ds_store_2addr_b32 v131, v133, v140 offset1:1
	ds_store_2addr_b32 v131, v143, v137 offset0:2 offset1:3
	ds_store_b32 v131, v141 offset:16
	;; [unrolled: 3-line block ×3, first 2 shown]
	global_wb scope:SCOPE_SE
	s_wait_dscnt 0x0
	s_barrier_signal -1
	s_barrier_wait -1
	global_inv scope:SCOPE_SE
	ds_load_2addr_b32 v[129:130], v54 offset0:216 offset1:243
	ds_load_b32 v74, v54 offset:1512
	ds_load_2addr_b32 v[131:132], v71 offset0:68 offset1:95
	ds_load_2addr_b32 v[133:134], v54 offset0:162 offset1:189
	;; [unrolled: 1-line block ×4, first 2 shown]
	ds_load_2addr_b32 v[139:140], v54 offset1:27
	ds_load_2addr_b32 v[141:142], v54 offset0:54 offset1:81
	global_wb scope:SCOPE_SE
	s_wait_dscnt 0x0
	s_barrier_signal -1
	s_barrier_wait -1
	global_inv scope:SCOPE_SE
	v_lshrrev_b32_e32 v143, 16, v130
	v_mul_f16_e64 v144, v128, v130
	v_lshrrev_b32_e32 v145, 16, v74
	v_mul_f16_e64 v146, v125, v74
	v_lshrrev_b32_e32 v151, 16, v131
	v_mul_f16_e64 v152, v123, v131
	v_lshrrev_b32_e32 v155, 16, v133
	v_mul_f16_e64 v156, v122, v133
	v_lshrrev_b32_e32 v157, 16, v136
	v_mul_f16_e64 v158, v121, v136
	v_lshrrev_b32_e32 v159, 16, v135
	v_lshrrev_b32_e32 v161, 16, v138
	;; [unrolled: 1-line block ×3, first 2 shown]
	v_mul_f16_e64 v148, v127, v129
	v_lshrrev_b32_e32 v149, 16, v132
	v_mul_f16_e64 v150, v126, v132
	v_lshrrev_b32_e32 v153, 16, v134
	v_mul_f16_e64 v154, v124, v134
	v_mul_f16_e64 v160, v119, v135
	;; [unrolled: 1-line block ×4, first 2 shown]
	v_fma_f16 v143, v38, v143, -v144
	v_mul_f16_e64 v125, v125, v145
	v_fma_f16 v145, v39, v145, -v146
	v_mul_f16_e64 v123, v123, v151
	;; [unrolled: 2-line block ×5, first 2 shown]
	v_mul_f16_e64 v120, v120, v161
	v_mul_f16_e64 v127, v127, v147
	v_fma_f16 v147, v40, v147, -v148
	v_lshrrev_b32_e32 v148, 16, v139
	v_mul_f16_e64 v126, v126, v149
	v_fma_f16 v149, v41, v149, -v150
	v_lshrrev_b32_e32 v150, 16, v142
	v_mul_f16_e64 v124, v124, v153
	v_fma_f16 v153, v36, v153, -v154
	v_lshrrev_b32_e32 v154, 16, v141
	v_fma_f16 v156, v32, v161, -v162
	v_fma_f16 v157, v33, v159, -v160
	v_lshrrev_b32_e32 v144, 16, v137
	v_lshrrev_b32_e32 v146, 16, v140
	v_fmac_f16_e32 v125, v39, v74
	v_fmac_f16_e64 v128, v38, v130
	v_fmac_f16_e64 v122, v34, v133
	;; [unrolled: 1-line block ×5, first 2 shown]
	v_add_f16_e64 v32, v143, v145
	v_add_f16_e64 v35, v152, v155
	v_fmac_f16_e64 v127, v40, v129
	v_fmac_f16_e64 v126, v41, v132
	;; [unrolled: 1-line block ×4, first 2 shown]
	v_add_f16_e64 v38, v156, v157
	v_add_f16_e64 v39, v148, v156
	;; [unrolled: 1-line block ×8, first 2 shown]
	v_fmac_f16_e64 v144, -0.5, v32
	v_add_f16_e64 v32, v128, v125
	v_fmac_f16_e64 v146, -0.5, v35
	v_add_f16_e32 v35, v122, v121
	v_add_f16_e64 v134, v140, v122
	v_sub_f16_e32 v122, v122, v121
	v_add_f16_e64 v135, v120, v119
	v_add_f16_e64 v136, v139, v120
	;; [unrolled: 1-line block ×3, first 2 shown]
	v_sub_f16_e64 v128, v128, v125
	v_fmac_f16_e64 v148, -0.5, v38
	v_add_f16_e64 v38, v39, v157
	v_fmac_f16_e64 v150, -0.5, v41
	v_add_f16_e64 v39, v130, v151
	v_add_f16_e64 v41, v74, v149
	v_sub_f16_e32 v74, v120, v119
	v_add_f16_e32 v120, v127, v126
	v_add_f16_e64 v130, v141, v124
	v_sub_f16_e64 v138, v124, v123
	v_add_f16_e32 v124, v124, v123
	v_sub_f16_e64 v34, v143, v145
	v_sub_f16_e64 v37, v152, v155
	v_sub_f16_e64 v40, v156, v157
	v_fmac_f16_e64 v154, -0.5, v129
	v_add_f16_e64 v129, v142, v127
	v_sub_f16_e32 v127, v127, v126
	v_fmac_f16_e64 v137, -0.5, v32
	v_fmac_f16_e64 v140, -0.5, v35
	v_fma_f16 v35, 0x3aee, v122, v146
	v_fmac_f16_e64 v146, 0xbaee, v122
	v_fma_f16 v122, -0.5, v135, v139
	v_add_f16_e64 v119, v136, v119
	v_sub_f16_e64 v131, v153, v151
	v_sub_f16_e64 v132, v147, v149
	v_add_f16_e64 v36, v36, v155
	v_fma_f16 v32, 0x3aee, v128, v144
	v_fmac_f16_e64 v144, 0xbaee, v128
	v_fma_f16 v128, 0x3aee, v74, v148
	v_fmac_f16_e64 v148, 0xbaee, v74
	v_add_f16_e64 v74, v134, v121
	v_fmac_f16_e64 v142, -0.5, v120
	v_fma_f16 v124, -0.5, v124, v141
	v_fma_f16 v120, 0x3aee, v127, v150
	v_fmac_f16_e64 v150, 0xbaee, v127
	v_fma_f16 v127, 0xbaee, v34, v137
	v_fmac_f16_e64 v137, 0x3aee, v34
	;; [unrolled: 2-line block ×3, first 2 shown]
	v_pack_b32_f16 v37, v119, v38
	v_fmamk_f16 v38, v40, 0xbaee, v122
	v_fmac_f16_e32 v122, 0x3aee, v40
	v_add_f16_e64 v121, v130, v123
	v_fma_f16 v123, 0x3aee, v138, v154
	v_pack_b32_f16 v36, v74, v36
	v_fma_f16 v40, 0xbaee, v132, v142
	v_fma_f16 v74, 0xbaee, v131, v124
	v_add_f16_e64 v33, v33, v145
	v_fmac_f16_e64 v154, 0xbaee, v138
	v_add_f16_e64 v126, v129, v126
	v_add_f16_e64 v125, v133, v125
	v_fmac_f16_e64 v142, 0x3aee, v132
	v_fmac_f16_e64 v124, 0x3aee, v131
	v_pack_b32_f16 v38, v38, v128
	v_pack_b32_f16 v122, v122, v148
	;; [unrolled: 1-line block ×13, first 2 shown]
	ds_store_2addr_b32 v114, v37, v38 offset1:5
	ds_store_b32 v114, v122 offset:40
	ds_store_2addr_b32 v116, v36, v34 offset1:5
	ds_store_b32 v116, v121 offset:40
	;; [unrolled: 2-line block ×5, first 2 shown]
	global_wb scope:SCOPE_SE
	s_wait_dscnt 0x0
	s_barrier_signal -1
	s_barrier_wait -1
	global_inv scope:SCOPE_SE
	ds_load_2addr_b32 v[36:37], v54 offset0:216 offset1:243
	ds_load_b32 v40, v54 offset:1512
	ds_load_2addr_b32 v[38:39], v71 offset0:68 offset1:95
	ds_load_2addr_b32 v[114:115], v54 offset0:162 offset1:189
	;; [unrolled: 1-line block ×4, first 2 shown]
	ds_load_2addr_b32 v[120:121], v54 offset1:27
	ds_load_2addr_b32 v[122:123], v54 offset0:54 offset1:81
	v_mad_co_u64_u32 v[32:33], null, s26, v1, 0
	v_mad_co_u64_u32 v[34:35], null, s24, v0, 0
	global_wb scope:SCOPE_SE
	s_wait_dscnt 0x0
	s_barrier_signal -1
	s_barrier_wait -1
	global_inv scope:SCOPE_SE
	v_lshrrev_b32_e32 v41, 16, v37
	v_mul_f16_e32 v74, v111, v37
	v_lshrrev_b32_e32 v124, 16, v40
	v_mul_f16_e32 v125, v110, v40
	v_lshrrev_b32_e32 v128, 16, v39
	v_mul_f16_e64 v129, v113, v39
	v_lshrrev_b32_e32 v134, 16, v114
	v_mul_f16_e64 v135, v107, v114
	v_lshrrev_b32_e32 v136, 16, v117
	v_mul_f16_e64 v137, v106, v117
	v_lshrrev_b32_e32 v138, 16, v116
	v_lshrrev_b32_e32 v140, 16, v119
	;; [unrolled: 1-line block ×3, first 2 shown]
	v_mul_f16_e32 v127, v112, v36
	v_lshrrev_b32_e32 v130, 16, v38
	v_mul_f16_e64 v131, v109, v38
	v_lshrrev_b32_e32 v132, 16, v115
	v_mul_f16_e64 v139, v104, v116
	v_mul_f16_e64 v141, v105, v119
	v_mul_f16_e32 v111, v111, v41
	v_fma_f16 v41, v8, v41, -v74
	v_mul_f16_e32 v74, v110, v124
	v_fma_f16 v110, v9, v124, -v125
	v_mul_f16_e64 v113, v113, v128
	v_fma_f16 v125, v11, v128, -v129
	v_mul_f16_e64 v107, v107, v134
	;; [unrolled: 2-line block ×4, first 2 shown]
	v_mul_f16_e64 v104, v104, v138
	v_mul_f16_e64 v133, v108, v115
	v_mul_f16_e32 v112, v112, v126
	v_fma_f16 v124, v10, v126, -v127
	v_mul_f16_e64 v108, v108, v132
	v_mul_f16_e64 v109, v109, v130
	v_fma_f16 v127, v7, v130, -v131
	v_fma_f16 v130, v2, v140, -v141
	;; [unrolled: 1-line block ×3, first 2 shown]
	v_lshrrev_b32_e32 v142, 16, v118
	v_lshrrev_b32_e32 v143, 16, v121
	;; [unrolled: 1-line block ×3, first 2 shown]
	v_fmac_f16_e32 v74, v9, v40
	v_fmac_f16_e32 v111, v8, v37
	;; [unrolled: 1-line block ×6, first 2 shown]
	v_add_f16_e32 v2, v41, v110
	v_add_f16_e64 v5, v128, v129
	v_fma_f16 v126, v6, v132, -v133
	v_lshrrev_b32_e32 v145, 16, v123
	v_fmac_f16_e32 v112, v10, v36
	v_fmac_f16_e32 v113, v11, v39
	;; [unrolled: 1-line block ×4, first 2 shown]
	v_add_f16_e64 v8, v130, v131
	v_add_f16_e32 v11, v124, v125
	v_add_f16_e64 v3, v142, v41
	v_add_f16_e64 v6, v143, v128
	;; [unrolled: 1-line block ×3, first 2 shown]
	v_fmac_f16_e64 v142, -0.5, v2
	v_add_f16_e32 v2, v111, v74
	v_fmac_f16_e64 v143, -0.5, v5
	v_add_f16_e32 v5, v107, v106
	v_add_f16_e32 v114, v121, v107
	v_sub_f16_e32 v107, v107, v106
	v_add_f16_e32 v115, v105, v104
	v_add_f16_e32 v116, v120, v105
	v_lshrrev_b32_e32 v146, 16, v122
	v_add_f16_e32 v39, v126, v127
	v_add_f16_e64 v36, v145, v124
	v_fmac_f16_e64 v144, -0.5, v8
	v_sub_f16_e32 v8, v105, v104
	v_fmac_f16_e64 v145, -0.5, v11
	v_add_f16_e32 v11, v112, v113
	v_add_f16_e32 v117, v108, v109
	v_sub_f16_e32 v4, v41, v110
	v_sub_f16_e64 v7, v128, v129
	v_sub_f16_e64 v10, v130, v131
	v_add_f16_e32 v41, v118, v111
	v_add_f16_e64 v9, v9, v131
	v_fmac_f16_e32 v118, -0.5, v2
	v_fmac_f16_e32 v121, -0.5, v5
	v_fma_f16 v5, 0x3aee, v107, v143
	v_fmac_f16_e64 v143, 0xbaee, v107
	v_fma_f16 v107, -0.5, v115, v120
	v_add_f16_e32 v104, v116, v104
	v_add_f16_e64 v38, v146, v126
	v_add_f16_e32 v105, v123, v112
	v_fmac_f16_e64 v146, -0.5, v39
	v_sub_f16_e32 v39, v108, v109
	v_sub_f16_e32 v37, v124, v125
	;; [unrolled: 1-line block ×4, first 2 shown]
	v_add_f16_e64 v6, v6, v129
	v_sub_f16_e32 v112, v112, v113
	v_add_f16_e32 v119, v122, v108
	v_fma_f16 v108, 0x3aee, v8, v144
	v_fmac_f16_e64 v144, 0xbaee, v8
	v_add_f16_e32 v8, v114, v106
	v_fmac_f16_e32 v123, -0.5, v11
	v_fma_f16 v106, -0.5, v117, v122
	v_add_f16_e32 v41, v41, v74
	v_fmamk_f16 v74, v4, 0xbaee, v118
	v_fmac_f16_e32 v118, 0x3aee, v4
	v_fmamk_f16 v4, v7, 0xbaee, v121
	v_fmac_f16_e32 v121, 0x3aee, v7
	v_pack_b32_f16 v7, v104, v9
	v_fmamk_f16 v9, v10, 0xbaee, v107
	v_fmac_f16_e32 v107, 0x3aee, v10
	v_add_f16_e32 v36, v36, v125
	v_add_f16_e32 v3, v3, v110
	v_fma_f16 v110, 0x3aee, v39, v146
	v_fmac_f16_e64 v146, 0xbaee, v39
	v_add_f16_e32 v39, v105, v113
	v_add_f16_e32 v38, v38, v127
	v_fma_f16 v2, 0x3aee, v111, v142
	v_fma_f16 v11, 0x3aee, v112, v145
	v_fmac_f16_e64 v145, 0xbaee, v112
	v_add_f16_e32 v109, v119, v109
	v_pack_b32_f16 v6, v8, v6
	v_fmamk_f16 v8, v37, 0xbaee, v123
	v_fmac_f16_e32 v123, 0x3aee, v37
	v_fmamk_f16 v10, v40, 0xbaee, v106
	v_fmac_f16_e64 v142, 0xbaee, v111
	v_fmac_f16_e32 v106, 0x3aee, v40
	v_pack_b32_f16 v9, v9, v108
	v_pack_b32_f16 v40, v107, v144
	v_pack_b32_f16 v4, v4, v5
	v_pack_b32_f16 v36, v39, v36
	v_pack_b32_f16 v39, v121, v143
	v_pack_b32_f16 v37, v109, v38
	v_pack_b32_f16 v3, v41, v3
	v_pack_b32_f16 v5, v123, v145
	v_pack_b32_f16 v10, v10, v110
	v_pack_b32_f16 v2, v74, v2
	v_pack_b32_f16 v38, v118, v142
	v_pack_b32_f16 v41, v106, v146
	v_pack_b32_f16 v8, v8, v11
	ds_store_2addr_b32 v85, v7, v9 offset1:15
	ds_store_b32 v85, v40 offset:120
	ds_store_2addr_b32 v87, v6, v4 offset1:15
	ds_store_b32 v87, v39 offset:120
	;; [unrolled: 2-line block ×5, first 2 shown]
	global_wb scope:SCOPE_SE
	s_wait_dscnt 0x0
	s_barrier_signal -1
	s_barrier_wait -1
	global_inv scope:SCOPE_SE
	ds_load_2addr_b32 v[2:3], v54 offset0:162 offset1:189
	ds_load_2addr_b32 v[6:7], v71 offset0:68 offset1:95
	ds_load_2addr_b32 v[4:5], v54 offset0:216 offset1:243
	v_dual_mov_b32 v8, v33 :: v_dual_mov_b32 v9, v35
	ds_load_b32 v33, v54 offset:1512
	ds_load_2addr_b32 v[35:36], v71 offset0:14 offset1:41
	ds_load_2addr_b32 v[37:38], v54 offset0:108 offset1:135
	ds_load_2addr_b32 v[39:40], v54 offset1:27
	ds_load_2addr_b32 v[85:86], v54 offset0:54 offset1:81
	global_wb scope:SCOPE_SE
	s_wait_dscnt 0x0
	s_barrier_signal -1
	v_mad_co_u64_u32 v[10:11], null, s27, v1, v[8:9]
	s_barrier_wait -1
	global_inv scope:SCOPE_SE
	s_mul_u64 s[26:27], s[24:25], 0x144
	v_lshrrev_b32_e32 v1, 16, v3
	v_lshrrev_b32_e32 v8, 16, v6
	v_mul_f16_e32 v11, v102, v3
	v_lshrrev_b32_e32 v41, 16, v4
	v_lshrrev_b32_e32 v74, 16, v7
	v_mul_f16_e32 v87, v103, v6
	v_mul_f16_e32 v92, v100, v4
	v_lshrrev_b32_e32 v108, 16, v2
	v_lshrrev_b32_e32 v109, 16, v36
	v_mul_f16_e32 v110, v98, v2
	v_mul_f16_e32 v111, v97, v36
	v_lshrrev_b32_e32 v112, 16, v38
	v_lshrrev_b32_e32 v113, 16, v35
	;; [unrolled: 1-line block ×3, first 2 shown]
	v_mul_f16_e32 v104, v101, v7
	v_mul_f16_e32 v105, v99, v5
	v_lshrrev_b32_e32 v106, 16, v33
	v_mul_f16_e32 v114, v94, v38
	v_mul_f16_e32 v116, v95, v35
	v_lshrrev_b32_e32 v119, 16, v86
	v_mul_f16_e32 v102, v102, v1
	v_fma_f16 v1, v20, v1, -v11
	v_mul_f16_e32 v11, v103, v8
	v_fma_f16 v8, v21, v8, -v87
	;; [unrolled: 2-line block ×3, first 2 shown]
	v_mul_f16_e32 v92, v101, v74
	v_mul_f16_e32 v98, v98, v108
	v_fma_f16 v101, v14, v108, -v110
	v_fma_f16 v103, v15, v109, -v111
	v_mul_f16_e32 v94, v94, v112
	v_mul_f16_e32 v95, v95, v113
	;; [unrolled: 1-line block ×3, first 2 shown]
	v_lshrrev_b32_e32 v117, 16, v40
	v_lshrrev_b32_e32 v118, 16, v85
	v_lshrrev_b32_e32 v120, 16, v37
	v_fma_f16 v74, v19, v74, -v104
	v_mul_f16_e32 v99, v99, v93
	v_fma_f16 v93, v16, v93, -v105
	v_mul_f16_e32 v96, v96, v106
	v_mul_f16_e32 v97, v97, v109
	v_fma_f16 v104, v12, v112, -v114
	v_fma_f16 v105, v13, v113, -v116
	v_fmac_f16_e32 v92, v19, v7
	v_fmac_f16_e32 v98, v14, v2
	;; [unrolled: 1-line block ×4, first 2 shown]
	v_add_f16_e32 v7, v101, v103
	v_add_f16_e32 v14, v119, v41
	v_lshrrev_b32_e32 v115, 16, v39
	v_fma_f16 v100, v17, v106, -v107
	v_fmac_f16_e32 v87, v18, v4
	v_fmac_f16_e32 v99, v16, v5
	;; [unrolled: 1-line block ×4, first 2 shown]
	v_add_f16_e32 v4, v104, v105
	v_add_f16_e32 v5, v117, v101
	;; [unrolled: 1-line block ×4, first 2 shown]
	v_fmac_f16_e32 v102, v20, v3
	v_fmac_f16_e32 v11, v21, v6
	v_add_f16_e32 v13, v1, v8
	v_fmac_f16_e32 v117, -0.5, v7
	v_add_f16_e32 v7, v14, v74
	v_add_f16_e32 v14, v94, v95
	v_add_f16_e32 v2, v115, v104
	v_sub_f16_e32 v1, v1, v8
	v_add_f16_e32 v15, v41, v74
	v_add_f16_e32 v18, v93, v100
	v_fmac_f16_e32 v115, -0.5, v4
	v_add_f16_e32 v4, v5, v103
	v_add_f16_e32 v5, v12, v8
	;; [unrolled: 1-line block ×5, first 2 shown]
	v_sub_f16_e32 v3, v104, v105
	v_sub_f16_e32 v16, v41, v74
	v_fmac_f16_e32 v118, -0.5, v13
	v_add_f16_e32 v12, v39, v94
	v_sub_f16_e32 v13, v94, v95
	v_add_f16_e32 v20, v85, v102
	v_add_f16_e32 v36, v87, v92
	;; [unrolled: 1-line block ×3, first 2 shown]
	v_fma_f16 v14, -0.5, v14, v39
	v_sub_f16_e32 v6, v101, v103
	v_fmac_f16_e32 v119, -0.5, v15
	v_fmac_f16_e32 v120, -0.5, v18
	v_add_f16_e32 v15, v40, v98
	v_sub_f16_e32 v18, v98, v97
	v_fmac_f16_e32 v40, -0.5, v17
	v_sub_f16_e32 v21, v102, v11
	v_fma_f16 v33, -0.5, v33, v85
	v_sub_f16_e32 v19, v93, v100
	v_add_f16_e32 v2, v2, v105
	v_add_f16_e32 v35, v86, v87
	v_sub_f16_e32 v38, v87, v92
	v_add_f16_e32 v41, v37, v99
	v_sub_f16_e32 v87, v99, v96
	v_add_f16_e32 v12, v12, v95
	v_fmamk_f16 v93, v13, 0x3aee, v115
	v_add_f16_e32 v11, v20, v11
	v_fmac_f16_e32 v86, -0.5, v36
	v_fmac_f16_e32 v37, -0.5, v74
	v_fmamk_f16 v36, v3, 0xbaee, v14
	v_fmac_f16_e32 v115, 0xbaee, v13
	v_fmac_f16_e32 v14, 0x3aee, v3
	v_add_f16_e32 v13, v15, v97
	v_fmamk_f16 v15, v18, 0x3aee, v117
	v_fmamk_f16 v3, v6, 0xbaee, v40
	v_fmac_f16_e32 v117, 0xbaee, v18
	v_fmac_f16_e32 v40, 0x3aee, v6
	v_fmamk_f16 v17, v21, 0x3aee, v118
	v_fmamk_f16 v6, v1, 0xbaee, v33
	v_fmac_f16_e32 v118, 0xbaee, v21
	v_add_f16_e32 v18, v35, v92
	v_fmamk_f16 v20, v38, 0x3aee, v119
	v_fmac_f16_e32 v119, 0xbaee, v38
	v_add_f16_e32 v21, v41, v96
	v_fmamk_f16 v35, v87, 0x3aee, v120
	v_fmac_f16_e32 v120, 0xbaee, v87
	v_fmac_f16_e32 v33, 0x3aee, v1
	v_fmamk_f16 v1, v16, 0xbaee, v86
	v_fmac_f16_e32 v86, 0x3aee, v16
	v_fmamk_f16 v16, v19, 0xbaee, v37
	v_fmac_f16_e32 v37, 0x3aee, v19
	v_pack_b32_f16 v2, v12, v2
	v_pack_b32_f16 v5, v11, v5
	;; [unrolled: 1-line block ×15, first 2 shown]
	ds_store_2addr_b32 v54, v2, v11 offset1:45
	ds_store_b32 v54, v12 offset:360
	ds_store_2addr_b32 v91, v4, v3 offset1:45
	ds_store_b32 v91, v13 offset:360
	ds_store_2addr_b32 v54, v5, v6 offset0:144 offset1:189
	ds_store_b32 v54, v14 offset:936
	ds_store_2addr_b32 v89, v7, v1 offset1:45
	ds_store_b32 v89, v15 offset:360
	ds_store_2addr_b32 v90, v8, v16 offset0:14 offset1:59
	ds_store_b32 v88, v17 offset:1440
	v_mad_co_u64_u32 v[11:12], null, s25, v0, v[9:10]
	global_wb scope:SCOPE_SE
	s_wait_dscnt 0x0
	s_barrier_signal -1
	s_barrier_wait -1
	global_inv scope:SCOPE_SE
	v_mov_b32_e32 v33, v10
	v_mov_b32_e32 v35, v11
	ds_load_2addr_b32 v[1:2], v54 offset1:27
	ds_load_2addr_b32 v[3:4], v54 offset0:108 offset1:135
	ds_load_2addr_b32 v[5:6], v71 offset0:14 offset1:41
	;; [unrolled: 1-line block ×6, first 2 shown]
	ds_load_b32 v0, v54 offset:1512
	v_lshlrev_b64_e32 v[9:10], 2, v[32:33]
	v_lshlrev_b64_e32 v[18:19], 2, v[34:35]
	s_wait_dscnt 0x7
	v_lshrrev_b32_e32 v11, 16, v1
	s_wait_dscnt 0x6
	v_lshrrev_b32_e32 v20, 16, v4
	;; [unrolled: 2-line block ×4, first 2 shown]
	v_lshrrev_b32_e32 v34, 16, v6
	v_lshrrev_b32_e32 v36, 16, v8
	s_wait_dscnt 0x2
	v_lshrrev_b32_e32 v37, 16, v14
	s_wait_dscnt 0x1
	v_lshrrev_b32_e32 v39, 16, v16
	v_lshrrev_b32_e32 v40, 16, v15
	;; [unrolled: 1-line block ×3, first 2 shown]
	s_wait_dscnt 0x0
	v_lshrrev_b32_e32 v86, 16, v0
	v_mul_f16_e32 v85, v84, v4
	v_mul_f16_e32 v87, v82, v5
	v_mul_f16_e32 v88, v83, v7
	v_mul_f16_e32 v89, v79, v6
	v_mul_f16_e32 v90, v80, v8
	v_mul_f16_e32 v91, v81, v14
	v_mul_f16_e32 v94, v76, v17
	v_mul_f16_e32 v95, v75, v0
	v_mul_f16_e32 v84, v84, v20
	v_mul_f16_e32 v82, v82, v21
	v_mul_f16_e32 v83, v83, v33
	v_mul_f16_e32 v79, v79, v34
	v_mul_f16_e32 v80, v80, v36
	v_mul_f16_e32 v81, v81, v37
	v_mul_f16_e32 v92, v77, v16
	v_mul_f16_e32 v93, v78, v15
	v_mul_f16_e32 v77, v77, v39
	v_mul_f16_e32 v78, v78, v40
	v_mul_f16_e32 v76, v76, v74
	v_mul_f16_e32 v75, v75, v86
	v_fma_f16 v20, v30, v20, -v85
	v_fma_f16 v21, v31, v21, -v87
	;; [unrolled: 1-line block ×8, first 2 shown]
	v_fmac_f16_e32 v84, v30, v4
	v_fmac_f16_e32 v82, v31, v5
	;; [unrolled: 1-line block ×6, first 2 shown]
	v_lshrrev_b32_e32 v32, 16, v2
	v_lshrrev_b32_e32 v35, 16, v12
	v_fma_f16 v39, v24, v39, -v92
	v_fma_f16 v40, v25, v40, -v93
	v_fmac_f16_e32 v77, v24, v16
	v_fmac_f16_e32 v78, v25, v15
	;; [unrolled: 1-line block ×4, first 2 shown]
	v_lshrrev_b32_e32 v38, 16, v13
	v_lshrrev_b32_e32 v41, 16, v3
	v_add_f16_e32 v4, v11, v20
	v_add_f16_e32 v5, v20, v21
	v_add_f16_e32 v8, v33, v34
	v_add_f16_e32 v16, v36, v37
	v_add_f16_e32 v25, v74, v85
	v_add_f16_e32 v27, v84, v82
	v_add_f16_e32 v28, v83, v79
	v_add_f16_e32 v30, v80, v81
	v_sub_f16_e32 v6, v33, v34
	v_add_f16_e32 v7, v32, v33
	v_sub_f16_e32 v14, v36, v37
	v_add_f16_e32 v15, v35, v36
	v_add_f16_e32 v22, v39, v40
	;; [unrolled: 1-line block ×4, first 2 shown]
	v_sub_f16_e32 v0, v20, v21
	v_add_f16_e32 v20, v38, v39
	v_add_f16_e32 v24, v41, v74
	;; [unrolled: 1-line block ×4, first 2 shown]
	v_fmac_f16_e32 v11, -0.5, v5
	v_sub_f16_e32 v5, v84, v82
	v_add_f16_e32 v21, v2, v83
	v_fmac_f16_e32 v32, -0.5, v8
	v_sub_f16_e32 v8, v83, v79
	v_add_f16_e32 v29, v12, v80
	;; [unrolled: 3-line block ×3, first 2 shown]
	v_fmac_f16_e32 v41, -0.5, v25
	v_sub_f16_e32 v25, v76, v75
	v_fma_f16 v1, -0.5, v27, v1
	v_fmac_f16_e32 v2, -0.5, v28
	v_fma_f16 v12, -0.5, v30, v12
	v_sub_f16_e32 v17, v39, v40
	v_sub_f16_e32 v23, v74, v85
	v_add_f16_e32 v7, v7, v34
	v_fmac_f16_e32 v38, -0.5, v22
	v_sub_f16_e32 v22, v77, v78
	v_add_f16_e32 v34, v3, v76
	v_fmac_f16_e32 v13, -0.5, v33
	v_fmac_f16_e32 v3, -0.5, v36
	v_add_f16_e32 v15, v15, v37
	v_add_f16_e32 v20, v20, v40
	v_fmamk_f16 v27, v5, 0x3aee, v11
	v_fmac_f16_e32 v11, 0xbaee, v5
	v_add_f16_e32 v5, v21, v79
	v_fmamk_f16 v21, v8, 0x3aee, v32
	v_fmac_f16_e32 v32, 0xbaee, v8
	v_add_f16_e32 v8, v29, v81
	v_fmamk_f16 v28, v16, 0x3aee, v35
	v_fmac_f16_e32 v35, 0xbaee, v16
	v_add_f16_e32 v16, v31, v78
	v_fmamk_f16 v30, v25, 0x3aee, v41
	v_fmac_f16_e32 v41, 0xbaee, v25
	v_fmamk_f16 v25, v0, 0xbaee, v1
	v_fmac_f16_e32 v1, 0x3aee, v0
	v_add_f16_e32 v26, v26, v82
	v_fmamk_f16 v0, v6, 0xbaee, v2
	v_fmac_f16_e32 v2, 0x3aee, v6
	v_fmamk_f16 v6, v14, 0xbaee, v12
	v_add_f16_e32 v24, v24, v85
	v_fmamk_f16 v29, v22, 0x3aee, v38
	v_fmac_f16_e32 v38, 0xbaee, v22
	v_add_f16_e32 v22, v34, v75
	v_fmac_f16_e32 v12, 0x3aee, v14
	v_fmamk_f16 v14, v17, 0xbaee, v13
	v_fmac_f16_e32 v13, 0x3aee, v17
	v_fmamk_f16 v17, v23, 0xbaee, v3
	v_fmac_f16_e32 v3, 0x3aee, v23
	v_pack_b32_f16 v5, v5, v7
	v_pack_b32_f16 v7, v8, v15
	;; [unrolled: 1-line block ×15, first 2 shown]
	ds_store_b32 v54, v16 offset:540
	ds_store_b32 v54, v1 offset:1080
	ds_store_2addr_b32 v54, v4, v5 offset1:27
	ds_store_2addr_b32 v54, v0, v6 offset0:162 offset1:189
	ds_store_2addr_b32 v71, v2, v11 offset0:41 offset1:68
	ds_store_2addr_b32 v54, v7, v8 offset0:54 offset1:81
	ds_store_b32 v54, v13 offset:1404
	ds_store_b32 v54, v15 offset:432
	ds_store_2addr_b32 v54, v12, v14 offset0:216 offset1:243
	ds_store_b32 v54, v3 offset:1512
	global_wb scope:SCOPE_SE
	s_wait_dscnt 0x0
	s_barrier_signal -1
	s_barrier_wait -1
	global_inv scope:SCOPE_SE
	ds_load_2addr_b32 v[16:17], v54 offset1:27
	ds_load_2addr_b32 v[6:7], v54 offset0:54 offset1:81
	ds_load_2addr_b32 v[14:15], v54 offset0:162 offset1:189
	;; [unrolled: 1-line block ×3, first 2 shown]
	v_add_co_u32 v2, vcc_lo, s0, v9
	s_wait_alu 0xfffd
	v_add_co_ci_u32_e32 v3, vcc_lo, s1, v10, vcc_lo
	ds_load_2addr_b32 v[8:9], v71 offset0:68 offset1:95
	ds_load_2addr_b32 v[4:5], v54 offset0:108 offset1:135
	v_add_co_u32 v10, vcc_lo, v2, v18
	s_wait_alu 0xfffd
	v_add_co_ci_u32_e32 v11, vcc_lo, v3, v19, vcc_lo
	ds_load_2addr_b32 v[2:3], v71 offset0:14 offset1:41
	s_wait_alu 0xfffe
	v_add_co_u32 v12, vcc_lo, v10, s26
	s_wait_alu 0xfffd
	v_add_co_ci_u32_e32 v13, vcc_lo, s27, v11, vcc_lo
	s_mul_i32 s0, s25, 0xfffffb5c
	s_wait_dscnt 0x6
	v_lshrrev_b32_e32 v18, 16, v16
	v_mul_f16_e32 v19, v73, v16
	s_wait_dscnt 0x5
	v_lshrrev_b32_e32 v20, 16, v7
	v_mul_f16_e32 v21, v72, v7
	;; [unrolled: 3-line block ×3, first 2 shown]
	v_fma_f16 v18, v52, v18, -v19
	v_mul_f16_e32 v23, v70, v14
	s_wait_dscnt 0x3
	v_lshrrev_b32_e32 v24, 16, v1
	v_mul_f16_e32 v25, v69, v1
	v_fma_f16 v19, v56, v20, -v21
	v_cvt_f32_f16_e32 v18, v18
	s_wait_dscnt 0x2
	v_lshrrev_b32_e32 v26, 16, v8
	v_mul_f16_e32 v27, v68, v8
	v_mul_f16_e32 v33, v72, v20
	v_mul_f16_e32 v20, v70, v22
	v_fma_f16 v21, v53, v22, -v23
	v_fma_f16 v22, v59, v24, -v25
	v_cvt_f32_f16_e32 v23, v19
	v_cvt_f64_f32_e32 v[18:19], v18
	v_lshrrev_b32_e32 v28, 16, v17
	v_mul_f16_e32 v29, v67, v17
	v_mul_f16_e32 v34, v69, v24
	;; [unrolled: 1-line block ×3, first 2 shown]
	v_fma_f16 v24, v58, v26, -v27
	v_cvt_f32_f16_e32 v27, v22
	v_cvt_f64_f32_e32 v[22:23], v23
	s_wait_dscnt 0x1
	v_lshrrev_b32_e32 v30, 16, v4
	v_mul_f16_e32 v31, v66, v4
	v_mul_f16_e32 v36, v67, v28
	v_fma_f16 v25, v51, v28, -v29
	v_cvt_f32_f16_e32 v21, v21
	v_cvt_f32_f16_e32 v28, v24
	v_fmac_f16_e32 v33, v56, v7
	v_fmac_f16_e32 v35, v58, v8
	v_cvt_f64_f32_e32 v[7:8], v27
	v_fma_f16 v26, v55, v30, -v31
	v_cvt_f32_f16_e32 v29, v25
	v_fmac_f16_e32 v32, v52, v16
	v_cvt_f64_f32_e32 v[24:25], v21
	v_fmac_f16_e32 v36, v51, v17
	v_cvt_f64_f32_e32 v[16:17], v28
	v_lshrrev_b32_e32 v74, 16, v15
	v_fmac_f16_e32 v34, v59, v1
	v_cvt_f32_f16_e32 v1, v26
	v_cvt_f64_f32_e32 v[26:27], v29
	v_mul_f16_e32 v37, v66, v30
	v_mul_f16_e32 v30, v65, v74
	v_fmac_f16_e32 v20, v53, v14
	v_cvt_f64_f32_e32 v[28:29], v1
	v_cvt_f32_f16_e32 v1, v33
	v_fmac_f16_e32 v37, v55, v4
	v_fmac_f16_e32 v30, v49, v15
	v_cvt_f32_f16_e32 v4, v32
	v_cvt_f32_f16_e32 v14, v20
	v_cvt_f64_f32_e32 v[32:33], v1
	v_cvt_f32_f16_e32 v20, v34
	v_cvt_f32_f16_e32 v53, v30
	v_cvt_f64_f32_e32 v[30:31], v4
	v_mul_f64_e32 v[58:59], s[28:29], v[18:19]
	v_cvt_f32_f16_e32 v21, v35
	v_cvt_f64_f32_e32 v[34:35], v14
	v_cvt_f32_f16_e32 v51, v37
	v_cvt_f32_f16_e32 v40, v36
	v_mul_f64_e32 v[66:67], s[28:29], v[22:23]
	v_cvt_f64_f32_e32 v[36:37], v20
	v_mul_f16_e32 v4, v65, v15
	v_cvt_f64_f32_e32 v[51:52], v51
	v_cvt_f64_f32_e32 v[38:39], v21
	;; [unrolled: 1-line block ×3, first 2 shown]
	v_add_co_u32 v20, vcc_lo, v12, s26
	v_fma_f16 v14, v49, v74, -v4
	v_mul_f64_e32 v[70:71], s[28:29], v[7:8]
	s_wait_alu 0xfffd
	v_add_co_ci_u32_e32 v21, vcc_lo, s27, v13, vcc_lo
	v_add_co_u32 v22, vcc_lo, v20, s26
	v_mul_f64_e32 v[68:69], s[28:29], v[24:25]
	v_mul_f64_e32 v[72:73], s[28:29], v[16:17]
	s_wait_alu 0xfffd
	v_add_co_ci_u32_e32 v23, vcc_lo, s27, v21, vcc_lo
	v_add_co_u32 v18, vcc_lo, v22, s26
	v_mul_f64_e32 v[74:75], s[28:29], v[26:27]
	s_wait_alu 0xfffd
	s_delay_alu instid0(VALU_DEP_3)
	v_add_co_ci_u32_e32 v19, vcc_lo, s27, v23, vcc_lo
	v_mul_f64_e32 v[16:17], s[28:29], v[28:29]
	v_cvt_f64_f32_e32 v[55:56], v53
	v_cvt_f32_f16_e32 v14, v14
	s_wait_alu 0xfffe
	s_sub_co_i32 s23, s0, s24
	s_wait_dscnt 0x0
	v_lshrrev_b32_e32 v1, 16, v2
	v_mad_co_u64_u32 v[7:8], null, 0xfffffb5c, s24, v[18:19]
	v_mul_f64_e32 v[78:79], s[28:29], v[32:33]
	v_cvt_f64_f32_e32 v[26:27], v14
	v_mul_f64_e32 v[76:77], s[28:29], v[30:31]
	v_and_or_b32 v49, 0x1ff, v59, v58
	v_lshrrev_b32_e32 v29, 16, v59
	v_mul_f64_e32 v[80:81], s[28:29], v[34:35]
	v_mul_f16_e32 v4, v64, v1
	v_add_nc_u32_e32 v8, s23, v8
	v_and_or_b32 v53, 0x1ff, v67, v66
	v_cmp_ne_u32_e32 vcc_lo, 0, v49
	v_mul_f64_e32 v[82:83], s[28:29], v[36:37]
	v_mul_f64_e32 v[24:25], s[28:29], v[51:52]
	v_lshrrev_b32_e32 v51, 8, v59
	v_bfe_u32 v52, v59, 20, 11
	s_wait_alu 0xfffd
	v_cndmask_b32_e64 v49, 0, 1, vcc_lo
	v_cmp_ne_u32_e32 vcc_lo, 0, v53
	v_mul_f64_e32 v[84:85], s[28:29], v[38:39]
	v_and_or_b32 v66, 0x1ff, v71, v70
	v_mul_f64_e32 v[40:41], s[28:29], v[40:41]
	v_lshrrev_b32_e32 v30, 16, v67
	s_wait_alu 0xfffd
	v_cndmask_b32_e64 v53, 0, 1, vcc_lo
	v_lshrrev_b32_e32 v32, 16, v71
	v_and_or_b32 v58, 0x1ff, v69, v68
	v_lshrrev_b32_e32 v59, 8, v69
	v_bfe_u32 v65, v69, 20, 11
	v_lshrrev_b32_e32 v31, 16, v69
	v_and_or_b32 v69, 0x1ff, v73, v72
	v_cmp_ne_u32_e32 vcc_lo, 0, v66
	v_and_or_b32 v72, 0x1ff, v75, v74
	v_lshrrev_b32_e32 v70, 8, v73
	v_bfe_u32 v68, v71, 20, 11
	v_and_or_b32 v16, 0x1ff, v17, v16
	s_wait_alu 0xfffd
	v_cndmask_b32_e64 v66, 0, 1, vcc_lo
	v_cmp_ne_u32_e32 vcc_lo, 0, v69
	v_mul_f64_e32 v[14:15], s[28:29], v[55:56]
	v_lshrrev_b32_e32 v55, 8, v67
	v_bfe_u32 v56, v67, 20, 11
	v_lshrrev_b32_e32 v67, 8, v71
	s_wait_alu 0xfffd
	v_cndmask_b32_e64 v69, 0, 1, vcc_lo
	v_cmp_ne_u32_e32 vcc_lo, 0, v72
	v_and_or_b32 v76, 0x1ff, v77, v76
	v_lshrrev_b32_e32 v86, 8, v77
	v_bfe_u32 v87, v77, 20, 11
	v_lshrrev_b32_e32 v35, 16, v77
	s_wait_alu 0xfffd
	v_cndmask_b32_e64 v72, 0, 1, vcc_lo
	v_cmp_ne_u32_e32 vcc_lo, 0, v58
	v_and_or_b32 v77, 0x1ff, v79, v78
	v_and_or_b32 v80, 0x1ff, v81, v80
	v_lshrrev_b32_e32 v89, 8, v81
	v_bfe_u32 v90, v81, 20, 11
	s_wait_alu 0xfffd
	v_cndmask_b32_e64 v58, 0, 1, vcc_lo
	v_cmp_ne_u32_e32 vcc_lo, 0, v16
	v_lshrrev_b32_e32 v37, 16, v81
	v_and_or_b32 v81, 0x1ff, v83, v82
	v_and_or_b32 v84, 0x1ff, v85, v84
	;; [unrolled: 1-line block ×3, first 2 shown]
	s_wait_alu 0xfffd
	v_cndmask_b32_e64 v102, 0, 1, vcc_lo
	v_cmp_ne_u32_e32 vcc_lo, 0, v76
	v_bfe_u32 v71, v73, 20, 11
	v_lshrrev_b32_e32 v33, 16, v73
	v_lshrrev_b32_e32 v73, 8, v75
	v_and_or_b32 v94, 0x1ff, v41, v40
	s_wait_alu 0xfffd
	v_cndmask_b32_e64 v76, 0, 1, vcc_lo
	v_cmp_ne_u32_e32 vcc_lo, 0, v77
	v_and_or_b32 v66, 0xffe, v67, v66
	v_and_or_b32 v67, 0xffe, v70, v69
	;; [unrolled: 1-line block ×4, first 2 shown]
	s_wait_alu 0xfffd
	v_cndmask_b32_e64 v77, 0, 1, vcc_lo
	v_cmp_ne_u32_e32 vcc_lo, 0, v80
	v_and_or_b32 v49, 0xffe, v51, v49
	v_lshrrev_b32_e32 v82, 8, v83
	v_lshrrev_b32_e32 v92, 8, v85
	v_sub_nc_u32_e32 v99, 0x3f1, v52
	s_wait_alu 0xfffd
	v_cndmask_b32_e64 v55, 0, 1, vcc_lo
	v_cmp_ne_u32_e32 vcc_lo, 0, v81
	v_add_nc_u32_e32 v52, 0xfffffc10, v52
	v_and_or_b32 v51, 0xffe, v59, v58
	v_bfe_u32 v88, v79, 20, 11
	v_lshrrev_b32_e32 v97, 8, v25
	s_wait_alu 0xfffd
	v_cndmask_b32_e64 v70, 0, 1, vcc_lo
	v_cmp_ne_u32_e32 vcc_lo, 0, v84
	v_sub_nc_u32_e32 v100, 0x3f1, v65
	v_add_nc_u32_e32 v65, 0xfffffc10, v65
	v_bfe_u32 v91, v83, 20, 11
	v_and_or_b32 v70, 0xffe, v82, v70
	s_wait_alu 0xfffd
	v_cndmask_b32_e64 v72, 0, 1, vcc_lo
	v_cmp_ne_u32_e32 vcc_lo, 0, v94
	v_or_b32_e32 v82, 0x1000, v49
	v_lshrrev_b32_e32 v38, 16, v83
	v_sub_nc_u32_e32 v83, 0x3f1, v68
	v_and_or_b32 v72, 0xffe, v92, v72
	s_wait_alu 0xfffd
	v_cndmask_b32_e64 v73, 0, 1, vcc_lo
	v_cmp_ne_u32_e32 vcc_lo, 0, v24
	v_lshl_or_b32 v92, v52, 12, v49
	v_add_nc_u32_e32 v68, 0xfffffc10, v68
	v_sub_nc_u32_e32 v103, 0x3f1, v87
	v_sub_nc_u32_e32 v104, 0x3f1, v88
	s_wait_alu 0xfffd
	v_cndmask_b32_e64 v80, 0, 1, vcc_lo
	v_cmp_ne_u32_e32 vcc_lo, 0, v49
	v_and_or_b32 v55, 0xffe, v89, v55
	v_or_b32_e32 v89, 0x1000, v51
	v_bfe_u32 v74, v75, 20, 11
	v_and_or_b32 v80, 0xffe, v97, v80
	s_wait_alu 0xfffd
	v_cndmask_b32_e64 v49, 0, 1, vcc_lo
	v_cmp_ne_u32_e32 vcc_lo, 0, v51
	v_lshl_or_b32 v97, v65, 12, v51
	v_lshrrev_b32_e32 v34, 16, v75
	v_lshrrev_b32_e32 v75, 8, v17
	;; [unrolled: 1-line block ×3, first 2 shown]
	s_wait_alu 0xfffd
	v_cndmask_b32_e64 v51, 0, 1, vcc_lo
	v_cmp_ne_u32_e32 vcc_lo, 0, v66
	v_bfe_u32 v93, v85, 20, 11
	v_lshrrev_b32_e32 v39, 16, v85
	v_sub_nc_u32_e32 v85, 0x3f1, v71
	v_add_nc_u32_e32 v71, 0xfffffc10, v71
	v_sub_nc_u32_e32 v105, 0x3f1, v90
	v_med3_i32 v58, v103, 0, 13
	v_med3_i32 v59, v104, 0, 13
	v_or_b32_e32 v103, 0x1000, v66
	v_lshl_or_b32 v104, v68, 12, v66
	s_wait_alu 0xfffd
	v_cndmask_b32_e64 v66, 0, 1, vcc_lo
	v_cmp_ne_u32_e32 vcc_lo, 0, v67
	v_lshrrev_b32_e32 v36, 16, v79
	v_sub_nc_u32_e32 v79, 0x3f1, v56
	v_lshrrev_b32_e32 v95, 8, v41
	v_add_nc_u32_e32 v56, 0xfffffc10, v56
	v_and_or_b32 v24, 0xffe, v75, v102
	v_med3_i32 v75, v105, 0, 13
	v_and_or_b32 v77, 0xffe, v78, v77
	v_or_b32_e32 v78, 0x1000, v67
	v_lshl_or_b32 v105, v71, 12, v67
	s_wait_alu 0xfffd
	v_cndmask_b32_e64 v67, 0, 1, vcc_lo
	v_cmp_ne_u32_e32 vcc_lo, 0, v53
	v_bfe_u32 v96, v41, 20, 11
	v_lshrrev_b32_e32 v40, 16, v41
	v_sub_nc_u32_e32 v41, 0x3f1, v74
	v_add_nc_u32_e32 v74, 0xfffffc10, v74
	v_sub_nc_u32_e32 v106, 0x3f1, v91
	v_or_b32_e32 v102, 0x1000, v53
	v_and_or_b32 v76, 0xffe, v86, v76
	v_and_or_b32 v73, 0xffe, v95, v73
	v_lshl_or_b32 v95, v56, 12, v53
	s_wait_alu 0xfffd
	v_cndmask_b32_e64 v53, 0, 1, vcc_lo
	v_cmp_ne_u32_e32 vcc_lo, 0, v69
	v_add_nc_u32_e32 v87, 0xfffffc10, v87
	v_med3_i32 v81, v106, 0, 13
	v_or_b32_e32 v86, 0x1000, v69
	v_lshl_or_b32 v106, v74, 12, v69
	s_wait_alu 0xfffd
	v_cndmask_b32_e64 v69, 0, 1, vcc_lo
	v_cmp_ne_u32_e32 vcc_lo, 0, v76
	v_add_nc_u32_e32 v88, 0xfffffc10, v88
	v_or_b32_e32 v112, 0x1000, v76
	v_lshl_or_b32 v121, v87, 12, v76
	v_add_nc_u32_e32 v90, 0xfffffc10, v90
	s_wait_alu 0xfffd
	v_cndmask_b32_e64 v76, 0, 1, vcc_lo
	v_cmp_ne_u32_e32 vcc_lo, 0, v77
	v_or_b32_e32 v113, 0x1000, v77
	v_lshl_or_b32 v122, v88, 12, v77
	v_med3_i32 v99, v99, 0, 13
	v_add_nc_u32_e32 v91, 0xfffffc10, v91
	s_wait_alu 0xfffd
	v_cndmask_b32_e64 v77, 0, 1, vcc_lo
	v_cmp_ne_u32_e32 vcc_lo, 0, v55
	v_or_b32_e32 v114, 0x1000, v55
	v_lshl_or_b32 v123, v90, 12, v55
	v_med3_i32 v79, v79, 0, 13
	v_sub_nc_u32_e32 v107, 0x3f1, v93
	s_wait_alu 0xfffd
	v_cndmask_b32_e64 v55, 0, 1, vcc_lo
	v_cmp_ne_u32_e32 vcc_lo, 0, v70
	v_sub_nc_u32_e32 v108, 0x3f1, v96
	v_add_nc_u32_e32 v93, 0xfffffc10, v93
	v_or_b32_e32 v115, 0x1000, v70
	v_lshrrev_b32_e32 v119, v99, v82
	v_lshl_or_b32 v124, v91, 12, v70
	s_wait_alu 0xfffd
	v_cndmask_b32_e64 v70, 0, 1, vcc_lo
	v_cmp_ne_u32_e32 vcc_lo, 0, v72
	v_bfe_u32 v28, v17, 20, 11
	v_bfe_u32 v98, v25, 20, 11
	v_med3_i32 v100, v100, 0, 13
	v_add_nc_u32_e32 v96, 0xfffffc10, v96
	v_med3_i32 v94, v108, 0, 13
	v_lshrrev_b32_e32 v108, v79, v102
	v_or_b32_e32 v116, 0x1000, v72
	v_lshl_or_b32 v125, v93, 12, v72
	s_wait_alu 0xfffd
	v_cndmask_b32_e64 v72, 0, 1, vcc_lo
	v_cmp_ne_u32_e32 vcc_lo, 0, v73
	v_lshlrev_b32_e32 v99, v99, v119
	v_sub_nc_u32_e32 v101, 0x3f1, v28
	v_med3_i32 v83, v83, 0, 13
	v_sub_nc_u32_e32 v109, 0x3f1, v98
	v_or_b32_e32 v117, 0x1000, v73
	v_lshrrev_b32_e32 v120, v100, v89
	v_lshl_or_b32 v126, v96, 12, v73
	s_wait_alu 0xfffd
	v_cndmask_b32_e64 v73, 0, 1, vcc_lo
	v_lshlrev_b32_e32 v79, v79, v108
	v_cmp_ne_u32_e32 vcc_lo, v99, v82
	v_med3_i32 v85, v85, 0, 13
	v_add_nc_u32_e32 v16, 0xfffffc10, v98
	v_med3_i32 v98, v101, 0, 13
	v_med3_i32 v101, v109, 0, 13
	v_lshrrev_b32_e32 v109, v83, v103
	v_lshlrev_b32_e32 v100, v100, v120
	s_wait_alu 0xfffd
	v_cndmask_b32_e64 v82, 0, 1, vcc_lo
	v_cmp_ne_u32_e32 vcc_lo, v79, v102
	v_med3_i32 v41, v41, 0, 13
	v_lshrrev_b32_e32 v110, v85, v78
	v_lshlrev_b32_e32 v83, v83, v109
	v_med3_i32 v84, v107, 0, 13
	s_wait_alu 0xfffd
	v_cndmask_b32_e64 v79, 0, 1, vcc_lo
	v_cmp_ne_u32_e32 vcc_lo, v100, v89
	v_or_b32_e32 v107, 0x1000, v24
	v_lshrrev_b32_e32 v111, v41, v86
	v_lshlrev_b32_e32 v85, v85, v110
	v_lshrrev_b32_e32 v129, v58, v112
	s_wait_alu 0xfffd
	v_cndmask_b32_e64 v89, 0, 1, vcc_lo
	v_cmp_ne_u32_e32 vcc_lo, v83, v103
	v_lshrrev_b32_e32 v128, v98, v107
	v_lshlrev_b32_e32 v41, v41, v111
	v_lshrrev_b32_e32 v130, v59, v113
	v_lshlrev_b32_e32 v58, v58, v129
	s_wait_alu 0xfffd
	v_cndmask_b32_e64 v83, 0, 1, vcc_lo
	v_cmp_ne_u32_e32 vcc_lo, v85, v78
	v_lshlrev_b32_e32 v98, v98, v128
	v_lshrrev_b32_e32 v131, v75, v114
	v_lshlrev_b32_e32 v59, v59, v130
	v_lshrrev_b32_e32 v132, v81, v115
	s_wait_alu 0xfffd
	v_cndmask_b32_e64 v78, 0, 1, vcc_lo
	v_cmp_ne_u32_e32 vcc_lo, v41, v86
	v_lshlrev_b32_e32 v75, v75, v131
	v_lshrrev_b32_e32 v133, v84, v116
	v_lshlrev_b32_e32 v81, v81, v132
	v_or_b32_e32 v118, 0x1000, v80
	s_wait_alu 0xfffd
	v_cndmask_b32_e64 v41, 0, 1, vcc_lo
	v_cmp_ne_u32_e32 vcc_lo, v98, v107
	v_lshrrev_b32_e32 v134, v94, v117
	v_lshlrev_b32_e32 v84, v84, v133
	v_lshrrev_b32_e32 v135, v101, v118
	v_or_b32_e32 v86, v120, v89
	s_wait_alu 0xfffd
	v_cndmask_b32_e64 v85, 0, 1, vcc_lo
	v_cmp_ne_u32_e32 vcc_lo, v58, v112
	v_lshlrev_b32_e32 v94, v94, v134
	v_lshlrev_b32_e32 v101, v101, v135
	v_or_b32_e32 v82, v119, v82
	v_or_b32_e32 v79, v108, v79
	s_wait_alu 0xfffd
	v_cndmask_b32_e64 v58, 0, 1, vcc_lo
	v_cmp_ne_u32_e32 vcc_lo, v59, v113
	v_or_b32_e32 v83, v109, v83
	v_or_b32_e32 v78, v110, v78
	v_or_b32_e32 v41, v111, v41
	v_or_b32_e32 v58, v129, v58
	s_wait_alu 0xfffd
	v_cndmask_b32_e64 v59, 0, 1, vcc_lo
	v_cmp_ne_u32_e32 vcc_lo, v75, v114
	v_lshl_or_b32 v127, v16, 12, v80
	v_lshl_or_b32 v49, v49, 9, 0x7c00
	v_lshl_or_b32 v53, v53, 9, 0x7c00
	v_or_b32_e32 v59, v130, v59
	s_wait_alu 0xfffd
	v_cndmask_b32_e64 v75, 0, 1, vcc_lo
	v_cmp_ne_u32_e32 vcc_lo, v81, v115
	v_lshl_or_b32 v51, v51, 9, 0x7c00
	v_lshl_or_b32 v66, v66, 9, 0x7c00
	v_lshl_or_b32 v67, v67, 9, 0x7c00
	v_or_b32_e32 v75, v131, v75
	s_wait_alu 0xfffd
	v_cndmask_b32_e64 v81, 0, 1, vcc_lo
	v_cmp_ne_u32_e32 vcc_lo, v84, v116
	v_lshl_or_b32 v69, v69, 9, 0x7c00
	v_lshl_or_b32 v76, v76, 9, 0x7c00
	v_lshl_or_b32 v77, v77, 9, 0x7c00
	v_or_b32_e32 v81, v132, v81
	s_wait_alu 0xfffd
	v_cndmask_b32_e64 v84, 0, 1, vcc_lo
	v_cmp_ne_u32_e32 vcc_lo, v94, v117
	v_lshl_or_b32 v55, v55, 9, 0x7c00
	v_lshl_or_b32 v70, v70, 9, 0x7c00
	v_lshl_or_b32 v72, v72, 9, 0x7c00
	v_or_b32_e32 v84, v133, v84
	s_wait_alu 0xfffd
	v_cndmask_b32_e64 v89, 0, 1, vcc_lo
	v_cmp_ne_u32_e32 vcc_lo, v101, v118
	v_fmac_f16_e32 v4, v48, v2
	v_lshl_or_b32 v73, v73, 9, 0x7c00
	v_mul_f16_e32 v2, v64, v2
	v_or_b32_e32 v89, v134, v89
	s_wait_alu 0xfffd
	v_cndmask_b32_e64 v94, 0, 1, vcc_lo
	v_cmp_gt_i32_e32 vcc_lo, 1, v52
	v_cvt_f32_f16_e32 v4, v4
	v_fma_f16 v1, v48, v1, -v2
	s_wait_alu 0xfffd
	v_cndmask_b32_e32 v82, v92, v82, vcc_lo
	v_cmp_gt_i32_e32 vcc_lo, 1, v56
	v_or_b32_e32 v92, v135, v94
	v_cvt_f32_f16_e32 v1, v1
	s_wait_alu 0xfffd
	v_dual_cndmask_b32 v79, v95, v79 :: v_dual_and_b32 v94, 7, v82
	v_cmp_gt_i32_e32 vcc_lo, 1, v65
	v_lshrrev_b32_e32 v82, 2, v82
	s_delay_alu instid0(VALU_DEP_3) | instskip(SKIP_4) | instid1(VALU_DEP_3)
	v_cmp_eq_u32_e64 s0, 3, v94
	s_wait_alu 0xfffd
	v_dual_cndmask_b32 v86, v97, v86 :: v_dual_and_b32 v95, 7, v79
	v_cmp_gt_i32_e32 vcc_lo, 1, v68
	v_lshrrev_b32_e32 v79, 2, v79
	v_cmp_lt_i32_e64 s1, 5, v95
	s_delay_alu instid0(VALU_DEP_4)
	v_and_b32_e32 v97, 7, v86
	s_wait_alu 0xfffd
	v_cndmask_b32_e32 v83, v104, v83, vcc_lo
	v_cmp_gt_i32_e32 vcc_lo, 1, v71
	v_lshrrev_b32_e32 v86, 2, v86
	v_cmp_eq_u32_e64 s2, 3, v95
	v_cmp_lt_i32_e64 s3, 5, v97
	v_and_b32_e32 v98, 7, v83
	s_wait_alu 0xfffd
	v_cndmask_b32_e32 v78, v105, v78, vcc_lo
	v_cmp_gt_i32_e32 vcc_lo, 1, v74
	v_cmp_eq_u32_e64 s4, 3, v97
	v_lshrrev_b32_e32 v83, 2, v83
	v_cmp_lt_i32_e64 s5, 5, v98
	v_and_b32_e32 v99, 7, v78
	s_wait_alu 0xfffd
	v_cndmask_b32_e32 v41, v106, v41, vcc_lo
	v_cmp_gt_i32_e32 vcc_lo, 1, v87
	v_cmp_eq_u32_e64 s6, 3, v98
	v_lshrrev_b32_e32 v78, 2, v78
	v_cmp_lt_i32_e64 s7, 5, v99
	v_cmp_eq_u32_e64 s8, 3, v99
	s_wait_alu 0xfffd
	v_cndmask_b32_e32 v58, v121, v58, vcc_lo
	v_cmp_gt_i32_e32 vcc_lo, 1, v88
	v_and_b32_e32 v100, 7, v41
	v_lshrrev_b32_e32 v41, 2, v41
	s_wait_alu 0xfffd
	v_cndmask_b32_e32 v59, v122, v59, vcc_lo
	v_cmp_gt_i32_e32 vcc_lo, 1, v90
	v_cmp_lt_i32_e64 s9, 5, v100
	v_cmp_eq_u32_e64 s10, 3, v100
	s_delay_alu instid0(VALU_DEP_4)
	v_and_b32_e32 v95, 7, v59
	s_wait_alu 0xfffd
	v_cndmask_b32_e32 v75, v123, v75, vcc_lo
	v_cmp_gt_i32_e32 vcc_lo, 1, v91
	v_lshrrev_b32_e32 v59, 2, v59
	v_cmp_lt_i32_e64 s13, 5, v95
	s_delay_alu instid0(VALU_DEP_4)
	v_and_b32_e32 v97, 7, v75
	s_wait_alu 0xfffd
	v_cndmask_b32_e32 v81, v124, v81, vcc_lo
	v_cmp_gt_i32_e32 vcc_lo, 1, v93
	v_cmp_eq_u32_e64 s14, 3, v95
	v_lshrrev_b32_e32 v75, 2, v75
	v_cmp_lt_i32_e64 s15, 5, v97
	v_and_b32_e32 v98, 7, v81
	s_wait_alu 0xfffd
	v_cndmask_b32_e32 v84, v125, v84, vcc_lo
	v_cmp_gt_i32_e32 vcc_lo, 1, v96
	v_cmp_eq_u32_e64 s16, 3, v97
	v_lshrrev_b32_e32 v81, 2, v81
	v_cmp_lt_i32_e64 s17, 5, v98
	;; [unrolled: 7-line block ×3, first 2 shown]
	v_and_b32_e32 v100, 7, v89
	s_wait_alu 0xfffd
	v_cndmask_b32_e32 v92, v127, v92, vcc_lo
	v_cmp_lt_i32_e32 vcc_lo, 5, v94
	v_and_b32_e32 v94, 7, v58
	v_lshrrev_b32_e32 v58, 2, v58
	v_cmp_eq_u32_e64 s20, 3, v99
	v_cmp_lt_i32_e64 s21, 5, v100
	s_or_b32 vcc_lo, s0, vcc_lo
	v_cmp_lt_i32_e64 s11, 5, v94
	s_wait_alu 0xfffe
	v_add_co_ci_u32_e32 v82, vcc_lo, 0, v82, vcc_lo
	s_or_b32 vcc_lo, s4, s3
	v_cmp_eq_u32_e64 s12, 3, v94
	s_wait_alu 0xfffe
	v_add_co_ci_u32_e32 v86, vcc_lo, 0, v86, vcc_lo
	s_or_b32 vcc_lo, s6, s5
	v_cmp_eq_u32_e64 s22, 3, v100
	s_wait_alu 0xfffe
	v_add_co_ci_u32_e32 v83, vcc_lo, 0, v83, vcc_lo
	s_or_b32 vcc_lo, s8, s7
	v_lshrrev_b32_e32 v89, 2, v89
	s_wait_alu 0xfffe
	v_add_co_ci_u32_e32 v78, vcc_lo, 0, v78, vcc_lo
	s_or_b32 vcc_lo, s2, s1
	v_cmp_ne_u32_e64 s1, 0, v80
	s_wait_alu 0xfffe
	v_add_co_ci_u32_e32 v79, vcc_lo, 0, v79, vcc_lo
	s_or_b32 vcc_lo, s10, s9
	s_wait_alu 0xfffe
	v_add_co_ci_u32_e32 v41, vcc_lo, 0, v41, vcc_lo
	v_cmp_gt_i32_e32 vcc_lo, 31, v52
	s_wait_alu 0xfffd
	v_cndmask_b32_e32 v82, 0x7c00, v82, vcc_lo
	v_cmp_gt_i32_e32 vcc_lo, 31, v65
	s_wait_alu 0xfffd
	v_cndmask_b32_e32 v86, 0x7c00, v86, vcc_lo
	;; [unrolled: 3-line block ×5, first 2 shown]
	s_or_b32 vcc_lo, s12, s11
	s_wait_alu 0xfffe
	v_add_co_ci_u32_e32 v58, vcc_lo, 0, v58, vcc_lo
	s_or_b32 vcc_lo, s14, s13
	s_wait_alu 0xfffe
	v_add_co_ci_u32_e32 v59, vcc_lo, 0, v59, vcc_lo
	;; [unrolled: 3-line block ×6, first 2 shown]
	v_cmp_gt_i32_e32 vcc_lo, 31, v74
	s_wait_alu 0xfffd
	v_cndmask_b32_e32 v41, 0x7c00, v41, vcc_lo
	v_cmp_eq_u32_e32 vcc_lo, 0x40f, v52
	s_wait_alu 0xfffd
	v_cndmask_b32_e32 v49, v82, v49, vcc_lo
	v_cmp_eq_u32_e32 vcc_lo, 0x40f, v56
	s_delay_alu instid0(VALU_DEP_2) | instskip(SKIP_3) | instid1(VALU_DEP_2)
	v_and_or_b32 v29, 0x8000, v29, v49
	s_wait_alu 0xfffd
	v_cndmask_b32_e32 v52, v79, v53, vcc_lo
	v_cmp_eq_u32_e32 vcc_lo, 0x40f, v65
	v_and_or_b32 v30, 0x8000, v30, v52
	s_wait_alu 0xfffd
	v_cndmask_b32_e32 v51, v86, v51, vcc_lo
	v_cmp_eq_u32_e32 vcc_lo, 0x40f, v68
	s_delay_alu instid0(VALU_DEP_2) | instskip(SKIP_3) | instid1(VALU_DEP_2)
	v_and_or_b32 v31, 0x8000, v31, v51
	s_wait_alu 0xfffd
	v_cndmask_b32_e32 v53, v83, v66, vcc_lo
	v_cmp_gt_i32_e32 vcc_lo, 31, v87
	v_and_or_b32 v32, 0x8000, v32, v53
	s_wait_alu 0xfffd
	v_cndmask_b32_e32 v56, 0x7c00, v58, vcc_lo
	v_cmp_gt_i32_e32 vcc_lo, 31, v88
	s_wait_alu 0xfffd
	v_cndmask_b32_e32 v58, 0x7c00, v59, vcc_lo
	v_cmp_gt_i32_e32 vcc_lo, 31, v90
	s_wait_alu 0xfffd
	v_cndmask_b32_e32 v59, 0x7c00, v75, vcc_lo
	v_cmp_gt_i32_e32 vcc_lo, 31, v91
	s_wait_alu 0xfffd
	v_cndmask_b32_e32 v65, 0x7c00, v81, vcc_lo
	v_cmp_gt_i32_e32 vcc_lo, 31, v93
	s_wait_alu 0xfffd
	v_cndmask_b32_e32 v66, 0x7c00, v84, vcc_lo
	v_cmp_eq_u32_e32 vcc_lo, 0x40f, v71
	s_wait_alu 0xfffd
	v_cndmask_b32_e32 v67, v78, v67, vcc_lo
	v_cmp_gt_i32_e32 vcc_lo, 31, v96
	s_delay_alu instid0(VALU_DEP_2)
	v_and_or_b32 v33, 0x8000, v33, v67
	s_wait_alu 0xfffd
	v_cndmask_b32_e32 v68, 0x7c00, v89, vcc_lo
	v_cmp_eq_u32_e32 vcc_lo, 0x40f, v74
	s_wait_alu 0xfffd
	v_cndmask_b32_e32 v41, v41, v69, vcc_lo
	v_cmp_eq_u32_e32 vcc_lo, 0x40f, v87
	s_delay_alu instid0(VALU_DEP_2) | instskip(SKIP_3) | instid1(VALU_DEP_2)
	v_and_or_b32 v34, 0x8000, v34, v41
	s_wait_alu 0xfffd
	v_cndmask_b32_e32 v56, v56, v76, vcc_lo
	v_cmp_eq_u32_e32 vcc_lo, 0x40f, v88
	v_and_or_b32 v35, 0x8000, v35, v56
	s_wait_alu 0xfffd
	v_cndmask_b32_e32 v49, v58, v77, vcc_lo
	v_cmp_eq_u32_e32 vcc_lo, 0x40f, v90
	s_delay_alu instid0(VALU_DEP_3) | instskip(NEXT) | instid1(VALU_DEP_3)
	v_and_b32_e32 v35, 0xffff, v35
	v_and_or_b32 v36, 0x8000, v36, v49
	s_wait_alu 0xfffd
	v_cndmask_b32_e32 v52, v59, v55, vcc_lo
	v_cmp_eq_u32_e32 vcc_lo, 0x40f, v91
	v_lshl_or_b32 v29, v29, 16, v35
	v_and_b32_e32 v36, 0xffff, v36
	s_delay_alu instid0(VALU_DEP_4)
	v_and_or_b32 v37, 0x8000, v37, v52
	s_wait_alu 0xfffd
	v_cndmask_b32_e32 v51, v65, v70, vcc_lo
	v_cmp_eq_u32_e32 vcc_lo, 0x40f, v93
	v_lshl_or_b32 v30, v30, 16, v36
	v_and_b32_e32 v37, 0xffff, v37
	s_delay_alu instid0(VALU_DEP_4)
	v_and_or_b32 v38, 0x8000, v38, v51
	s_wait_alu 0xfffd
	v_cndmask_b32_e32 v53, v66, v72, vcc_lo
	v_cmp_eq_u32_e32 vcc_lo, 0x40f, v96
	s_clause 0x1
	global_store_b32 v[10:11], v29, off
	global_store_b32 v[12:13], v30, off
	v_lshl_or_b32 v31, v31, 16, v37
	v_and_b32_e32 v38, 0xffff, v38
	v_and_or_b32 v39, 0x8000, v39, v53
	v_cvt_f64_f32_e32 v[12:13], v4
	v_and_or_b32 v4, 0x1ff, v15, v14
	v_mul_f64_e32 v[10:11], s[28:29], v[26:27]
	v_lshl_or_b32 v32, v32, 16, v38
	v_and_b32_e32 v39, 0xffff, v39
	s_clause 0x1
	global_store_b32 v[20:21], v31, off
	global_store_b32 v[22:23], v32, off
	v_add_nc_u32_e32 v20, 0xfffffc10, v28
	v_lshl_or_b32 v33, v33, 16, v39
	s_wait_alu 0xfffd
	v_cndmask_b32_e32 v55, v68, v73, vcc_lo
	v_cmp_ne_u32_e32 vcc_lo, 0, v4
	v_and_b32_e32 v14, 7, v92
	v_cmp_gt_i32_e64 s0, 1, v20
	global_store_b32 v[18:19], v33, off
	v_or_b32_e32 v18, v128, v85
	v_lshl_or_b32 v19, v20, 12, v24
	s_wait_alu 0xfffd
	v_cndmask_b32_e64 v4, 0, 1, vcc_lo
	v_lshrrev_b32_e32 v21, 8, v15
	v_bfe_u32 v22, v15, 20, 11
	v_cmp_lt_i32_e32 vcc_lo, 5, v14
	s_wait_alu 0xf1ff
	v_cndmask_b32_e64 v18, v19, v18, s0
	v_cmp_eq_u32_e64 s0, 3, v14
	v_and_or_b32 v4, 0xffe, v21, v4
	v_sub_nc_u32_e32 v19, 0x3f1, v22
	v_lshrrev_b32_e32 v14, 2, v92
	v_and_b32_e32 v21, 7, v18
	s_or_b32 vcc_lo, s0, vcc_lo
	v_or_b32_e32 v23, 0x1000, v4
	v_med3_i32 v19, v19, 0, 13
	s_wait_alu 0xfffe
	v_add_co_ci_u32_e32 v14, vcc_lo, 0, v14, vcc_lo
	v_cmp_lt_i32_e32 vcc_lo, 5, v21
	v_cmp_eq_u32_e64 s0, 3, v21
	v_lshrrev_b32_e32 v18, 2, v18
	v_lshrrev_b32_e32 v21, v19, v23
	v_add_nc_u32_e32 v22, 0xfffffc10, v22
	v_cndmask_b32_e64 v26, 0, 1, s1
	s_or_b32 vcc_lo, s0, vcc_lo
	v_mul_f64_e32 v[12:13], s[28:29], v[12:13]
	s_wait_alu 0xfffe
	v_add_co_ci_u32_e32 v18, vcc_lo, 0, v18, vcc_lo
	v_lshlrev_b32_e32 v19, v19, v21
	v_cmp_gt_i32_e32 vcc_lo, 31, v16
	v_and_or_b32 v10, 0x1ff, v11, v10
	v_lshl_or_b32 v26, v26, 9, 0x7c00
	v_and_or_b32 v40, 0x8000, v40, v55
	s_wait_alu 0xfffd
	v_cndmask_b32_e32 v14, 0x7c00, v14, vcc_lo
	v_cmp_ne_u32_e32 vcc_lo, v19, v23
	v_bfe_u32 v23, v11, 20, 11
	v_and_b32_e32 v40, 0xffff, v40
	s_wait_alu 0xfffd
	v_cndmask_b32_e64 v19, 0, 1, vcc_lo
	v_cmp_gt_i32_e32 vcc_lo, 31, v20
	v_sub_nc_u32_e32 v27, 0x3f1, v23
	v_add_nc_u32_e32 v23, 0xfffffc10, v23
	v_lshl_or_b32 v34, v34, 16, v40
	v_or_b32_e32 v19, v21, v19
	s_wait_alu 0xfffd
	v_cndmask_b32_e32 v18, 0x7c00, v18, vcc_lo
	v_cmp_ne_u32_e32 vcc_lo, 0, v10
	v_lshrrev_b32_e32 v10, 8, v11
	v_lshl_or_b32 v21, v22, 12, v4
	v_med3_i32 v27, v27, 0, 13
	v_lshrrev_b32_e32 v11, 16, v11
	s_wait_alu 0xfffd
	v_cndmask_b32_e64 v2, 0, 1, vcc_lo
	v_cmp_ne_u32_e32 vcc_lo, 0, v24
	global_store_b32 v[7:8], v34, off
	v_and_or_b32 v10, 0xffe, v10, v2
	s_wait_alu 0xfffd
	v_cndmask_b32_e64 v24, 0, 1, vcc_lo
	v_cmp_gt_i32_e32 vcc_lo, 1, v22
	v_cvt_f64_f32_e32 v[1:2], v1
	v_and_or_b32 v12, 0x1ff, v13, v12
	s_wait_alu 0xfffd
	v_cndmask_b32_e32 v19, v21, v19, vcc_lo
	v_cmp_eq_u32_e32 vcc_lo, 0x40f, v16
	v_lshl_or_b32 v21, v24, 9, 0x7c00
	v_or_b32_e32 v24, 0x1000, v10
	v_lshrrev_b32_e32 v16, 16, v25
	s_wait_alu 0xfffd
	v_dual_cndmask_b32 v14, v14, v26 :: v_dual_and_b32 v25, 7, v19
	v_lshrrev_b32_e32 v26, 16, v9
	v_cmp_eq_u32_e32 vcc_lo, 0x40f, v20
	v_lshrrev_b32_e32 v20, v27, v24
	s_delay_alu instid0(VALU_DEP_4)
	v_cmp_eq_u32_e64 s0, 3, v25
	v_and_or_b32 v14, 0x8000, v16, v14
	v_lshrrev_b32_e32 v16, 2, v19
	s_wait_alu 0xfffd
	v_cndmask_b32_e32 v18, v18, v21, vcc_lo
	v_lshrrev_b32_e32 v21, 16, v17
	v_mul_f16_e32 v17, v63, v26
	v_cmp_lt_i32_e32 vcc_lo, 5, v25
	v_lshlrev_b32_e32 v25, v27, v20
	v_bfe_u32 v27, v13, 20, 11
	v_and_or_b32 v18, 0x8000, v21, v18
	v_fmac_f16_e32 v17, v47, v9
	s_or_b32 vcc_lo, s0, vcc_lo
	v_cmp_ne_u32_e64 s1, v25, v24
	s_wait_alu 0xfffe
	v_add_co_ci_u32_e32 v24, vcc_lo, 0, v16, vcc_lo
	v_cvt_f32_f16_e32 v17, v17
	v_cmp_ne_u32_e32 vcc_lo, 0, v12
	s_wait_alu 0xf1ff
	v_cndmask_b32_e64 v19, 0, 1, s1
	v_lshrrev_b32_e32 v25, 8, v13
	v_mul_f16_e32 v9, v63, v9
	v_cvt_f64_f32_e32 v[16:17], v17
	s_wait_alu 0xfffd
	v_cndmask_b32_e64 v12, 0, 1, vcc_lo
	v_cmp_ne_u32_e32 vcc_lo, 0, v4
	v_or_b32_e32 v19, v20, v19
	v_lshl_or_b32 v20, v23, 12, v10
	v_mul_f64_e32 v[1:2], s[28:29], v[1:2]
	v_and_or_b32 v25, 0xffe, v25, v12
	s_wait_alu 0xfffd
	v_cndmask_b32_e64 v4, 0, 1, vcc_lo
	v_cmp_gt_i32_e32 vcc_lo, 1, v23
	v_sub_nc_u32_e32 v12, 0x3f1, v27
	v_fma_f16 v9, v47, v26, -v9
	v_lshrrev_b32_e32 v13, 16, v13
	v_lshl_or_b32 v4, v4, 9, 0x7c00
	s_wait_alu 0xfffd
	v_cndmask_b32_e32 v19, v20, v19, vcc_lo
	v_cmp_gt_i32_e32 vcc_lo, 31, v22
	v_med3_i32 v12, v12, 0, 13
	s_delay_alu instid0(VALU_DEP_3)
	v_and_b32_e32 v28, 7, v19
	s_wait_alu 0xfffd
	v_cndmask_b32_e32 v20, 0x7c00, v24, vcc_lo
	v_cmp_eq_u32_e32 vcc_lo, 0x40f, v22
	v_or_b32_e32 v24, 0x1000, v25
	v_and_b32_e32 v22, 0xffff, v14
	v_cmp_eq_u32_e64 s0, 3, v28
	v_lshrrev_b32_e32 v14, 2, v19
	s_wait_alu 0xfffd
	v_cndmask_b32_e32 v4, v20, v4, vcc_lo
	v_cmp_lt_i32_e32 vcc_lo, 5, v28
	v_lshrrev_b32_e32 v21, v12, v24
	v_lshrrev_b32_e32 v20, 16, v15
	v_lshl_or_b32 v18, v18, 16, v22
	s_or_b32 vcc_lo, s0, vcc_lo
	s_delay_alu instid0(VALU_DEP_3)
	v_lshlrev_b32_e32 v12, v12, v21
	s_wait_alu 0xfffe
	v_add_co_ci_u32_e32 v19, vcc_lo, 0, v14, vcc_lo
	v_cmp_ne_u32_e32 vcc_lo, 0, v10
	v_cvt_f32_f16_e32 v14, v9
	v_and_or_b32 v4, 0x8000, v20, v4
	v_mul_f64_e32 v[9:10], s[28:29], v[16:17]
	s_wait_alu 0xfffd
	v_cndmask_b32_e64 v26, 0, 1, vcc_lo
	v_cmp_ne_u32_e32 vcc_lo, v12, v24
	v_cvt_f64_f32_e32 v[14:15], v14
	v_and_or_b32 v1, 0x1ff, v2, v1
	v_add_nc_u32_e32 v24, 0xfffffc10, v27
	v_lshl_or_b32 v17, v26, 9, 0x7c00
	s_wait_alu 0xfffd
	v_cndmask_b32_e64 v12, 0, 1, vcc_lo
	v_cmp_gt_i32_e32 vcc_lo, 31, v23
	v_bfe_u32 v20, v2, 20, 11
	v_and_b32_e32 v4, 0xffff, v4
	s_delay_alu instid0(VALU_DEP_4)
	v_or_b32_e32 v12, v21, v12
	s_wait_alu 0xfffd
	v_cndmask_b32_e32 v16, 0x7c00, v19, vcc_lo
	v_cmp_eq_u32_e32 vcc_lo, 0x40f, v23
	v_lshl_or_b32 v19, v24, 12, v25
	v_lshrrev_b32_e32 v21, 16, v6
	s_wait_alu 0xfffd
	v_cndmask_b32_e32 v16, v16, v17, vcc_lo
	v_cmp_ne_u32_e32 vcc_lo, 0, v1
	v_lshrrev_b32_e32 v17, 8, v2
	v_mul_f16_e32 v23, v62, v21
	v_lshrrev_b32_e32 v2, 16, v2
	v_and_or_b32 v11, 0x8000, v11, v16
	s_wait_alu 0xfffd
	v_cndmask_b32_e64 v1, 0, 1, vcc_lo
	v_cmp_gt_i32_e32 vcc_lo, 1, v24
	v_fmac_f16_e32 v23, v46, v6
	v_mul_f16_e32 v6, v62, v6
	v_lshl_or_b32 v4, v11, 16, v4
	v_and_or_b32 v1, 0xffe, v17, v1
	s_wait_alu 0xfffd
	v_cndmask_b32_e32 v12, v19, v12, vcc_lo
	v_sub_nc_u32_e32 v17, 0x3f1, v20
	v_add_co_u32 v7, vcc_lo, v7, s26
	v_or_b32_e32 v19, 0x1000, v1
	s_delay_alu instid0(VALU_DEP_4) | instskip(NEXT) | instid1(VALU_DEP_4)
	v_and_b32_e32 v16, 7, v12
	v_med3_i32 v17, v17, 0, 13
	s_wait_alu 0xfffd
	v_add_co_ci_u32_e32 v8, vcc_lo, s27, v8, vcc_lo
	v_and_or_b32 v9, 0x1ff, v10, v9
	v_cmp_lt_i32_e32 vcc_lo, 5, v16
	v_cmp_eq_u32_e64 s0, 3, v16
	v_lshrrev_b32_e32 v16, 2, v12
	v_lshrrev_b32_e32 v22, v17, v19
	v_mul_f64_e32 v[11:12], s[28:29], v[14:15]
	v_cvt_f32_f16_e32 v14, v23
	s_or_b32 vcc_lo, s0, vcc_lo
	v_lshrrev_b32_e32 v23, 8, v10
	s_wait_alu 0xfffe
	v_add_co_ci_u32_e32 v16, vcc_lo, 0, v16, vcc_lo
	v_lshlrev_b32_e32 v17, v17, v22
	v_cmp_ne_u32_e32 vcc_lo, 0, v9
	v_cvt_f64_f32_e32 v[14:15], v14
	v_bfe_u32 v26, v10, 20, 11
	v_fma_f16 v6, v46, v21, -v6
	global_store_b32 v[7:8], v18, off
	s_wait_alu 0xfffd
	v_cndmask_b32_e64 v9, 0, 1, vcc_lo
	v_cmp_ne_u32_e32 vcc_lo, v17, v19
	v_add_nc_u32_e32 v19, 0xfffffc10, v20
	v_cvt_f32_f16_e32 v6, v6
	v_lshrrev_b32_e32 v10, 16, v10
	v_and_or_b32 v20, 0xffe, v23, v9
	s_wait_alu 0xfffd
	v_cndmask_b32_e64 v17, 0, 1, vcc_lo
	v_sub_nc_u32_e32 v9, 0x3f1, v26
	v_cmp_ne_u32_e32 vcc_lo, 0, v25
	v_lshl_or_b32 v25, v19, 12, v1
	s_delay_alu instid0(VALU_DEP_4)
	v_or_b32_e32 v17, v22, v17
	v_or_b32_e32 v22, 0x1000, v20
	s_wait_alu 0xfffd
	v_cndmask_b32_e64 v23, 0, 1, vcc_lo
	v_med3_i32 v9, v9, 0, 13
	v_cmp_gt_i32_e32 vcc_lo, 31, v24
	s_delay_alu instid0(VALU_DEP_3) | instskip(NEXT) | instid1(VALU_DEP_3)
	v_lshl_or_b32 v23, v23, 9, 0x7c00
	v_lshrrev_b32_e32 v28, v9, v22
	s_wait_alu 0xfffd
	v_cndmask_b32_e32 v27, 0x7c00, v16, vcc_lo
	v_cmp_gt_i32_e32 vcc_lo, 1, v19
	s_delay_alu instid0(VALU_DEP_3)
	v_lshlrev_b32_e32 v9, v9, v28
	s_wait_alu 0xfffd
	v_cndmask_b32_e32 v25, v25, v17, vcc_lo
	v_add_co_u32 v16, vcc_lo, v7, s26
	s_wait_alu 0xfffd
	v_add_co_ci_u32_e32 v17, vcc_lo, s27, v8, vcc_lo
	v_cmp_eq_u32_e32 vcc_lo, 0x40f, v24
	v_and_b32_e32 v24, 7, v25
	v_cmp_ne_u32_e64 s0, v9, v22
	v_and_or_b32 v8, 0x1ff, v12, v11
	v_lshrrev_b32_e32 v18, 2, v25
	s_wait_alu 0xfffd
	v_cndmask_b32_e32 v23, v27, v23, vcc_lo
	v_cmp_lt_i32_e32 vcc_lo, 5, v24
	s_wait_alu 0xf1ff
	v_cndmask_b32_e64 v7, 0, 1, s0
	v_cmp_eq_u32_e64 s0, 3, v24
	v_add_nc_u32_e32 v11, 0xfffffc10, v26
	v_cmp_ne_u32_e64 s1, 0, v8
	v_mul_f64_e32 v[8:9], s[28:29], v[14:15]
	v_or_b32_e32 v21, v28, v7
	v_cvt_f64_f32_e32 v[6:7], v6
	s_or_b32 vcc_lo, s0, vcc_lo
	v_lshl_or_b32 v22, v11, 12, v20
	s_wait_alu 0xfffe
	v_add_co_ci_u32_e32 v18, vcc_lo, 0, v18, vcc_lo
	v_cndmask_b32_e64 v24, 0, 1, s1
	v_lshrrev_b32_e32 v14, 8, v12
	v_bfe_u32 v15, v12, 20, 11
	v_cmp_gt_i32_e32 vcc_lo, 1, v11
	global_store_b32 v[16:17], v4, off
	v_cmp_eq_u32_e64 s1, 0x40f, v19
	v_and_or_b32 v14, 0xffe, v14, v24
	v_sub_nc_u32_e32 v24, 0x3f1, v15
	s_wait_alu 0xfffd
	v_cndmask_b32_e32 v21, v22, v21, vcc_lo
	v_cmp_ne_u32_e32 vcc_lo, 0, v1
	v_and_or_b32 v13, 0x8000, v13, v23
	v_or_b32_e32 v22, 0x1000, v14
	v_med3_i32 v24, v24, 0, 13
	v_and_b32_e32 v4, 7, v21
	s_wait_alu 0xfffd
	v_cndmask_b32_e64 v1, 0, 1, vcc_lo
	v_cmp_gt_i32_e32 vcc_lo, 31, v19
	v_and_b32_e32 v13, 0xffff, v13
	v_lshrrev_b32_e32 v25, v24, v22
	v_cmp_eq_u32_e64 s0, 3, v4
	v_lshl_or_b32 v1, v1, 9, 0x7c00
	s_wait_alu 0xfffd
	v_cndmask_b32_e32 v18, 0x7c00, v18, vcc_lo
	v_cmp_lt_i32_e32 vcc_lo, 5, v4
	v_lshrrev_b32_e32 v4, 2, v21
	v_lshrrev_b32_e32 v21, 16, v5
	;; [unrolled: 1-line block ×3, first 2 shown]
	s_wait_alu 0xf1ff
	v_cndmask_b32_e64 v1, v18, v1, s1
	v_lshlrev_b32_e32 v18, v24, v25
	s_or_b32 vcc_lo, s0, vcc_lo
	v_lshrrev_b32_e32 v26, 16, v3
	s_wait_alu 0xfffe
	v_add_co_ci_u32_e32 v4, vcc_lo, 0, v4, vcc_lo
	v_cmp_ne_u32_e32 vcc_lo, v18, v22
	v_and_or_b32 v19, 0x8000, v2, v1
	v_mul_f64_e32 v[1:2], s[28:29], v[6:7]
	v_and_or_b32 v6, 0x1ff, v9, v8
	v_add_nc_u32_e32 v8, 0xfffffc10, v15
	s_wait_alu 0xfffd
	v_cndmask_b32_e64 v18, 0, 1, vcc_lo
	v_cmp_gt_i32_e32 vcc_lo, 31, v11
	v_mul_f16_e32 v7, v61, v21
	v_lshrrev_b32_e32 v22, 8, v9
	v_bfe_u32 v23, v9, 20, 11
	v_or_b32_e32 v18, v25, v18
	s_wait_alu 0xfffd
	v_cndmask_b32_e32 v4, 0x7c00, v4, vcc_lo
	v_cmp_ne_u32_e32 vcc_lo, 0, v20
	v_lshl_or_b32 v20, v8, 12, v14
	v_fmac_f16_e32 v7, v45, v5
	v_mul_f16_e32 v5, v61, v5
	s_wait_alu 0xfffd
	v_cndmask_b32_e64 v15, 0, 1, vcc_lo
	v_cmp_ne_u32_e32 vcc_lo, 0, v6
	v_cvt_f32_f16_e32 v7, v7
	v_fma_f16 v5, v45, v21, -v5
	s_delay_alu instid0(VALU_DEP_4)
	v_lshl_or_b32 v15, v15, 9, 0x7c00
	s_wait_alu 0xfffd
	v_cndmask_b32_e64 v6, 0, 1, vcc_lo
	v_cmp_gt_i32_e32 vcc_lo, 1, v8
	s_wait_alu 0xfffd
	v_cndmask_b32_e32 v18, v20, v18, vcc_lo
	v_cmp_eq_u32_e32 vcc_lo, 0x40f, v11
	v_and_or_b32 v20, 0xffe, v22, v6
	v_cvt_f64_f32_e32 v[6:7], v7
	v_sub_nc_u32_e32 v22, 0x3f1, v23
	s_wait_alu 0xfffd
	v_dual_cndmask_b32 v11, v4, v15 :: v_dual_and_b32 v24, 7, v18
	v_lshrrev_b32_e32 v18, 2, v18
	v_or_b32_e32 v15, 0x1000, v20
	v_med3_i32 v4, v22, 0, 13
	s_delay_alu instid0(VALU_DEP_4)
	v_cmp_lt_i32_e32 vcc_lo, 5, v24
	v_cmp_eq_u32_e64 s0, 3, v24
	v_and_or_b32 v1, 0x1ff, v2, v1
	v_lshrrev_b32_e32 v24, 8, v2
	v_lshrrev_b32_e32 v22, v4, v15
	v_bfe_u32 v25, v2, 20, 11
	s_or_b32 vcc_lo, s0, vcc_lo
	v_and_or_b32 v10, 0x8000, v10, v11
	s_wait_alu 0xfffe
	v_add_co_ci_u32_e32 v18, vcc_lo, 0, v18, vcc_lo
	v_cmp_ne_u32_e32 vcc_lo, 0, v14
	v_lshlrev_b32_e32 v21, v4, v22
	v_cvt_f32_f16_e32 v4, v5
	v_lshrrev_b32_e32 v2, 16, v2
	s_wait_alu 0xfffd
	v_cndmask_b32_e64 v14, 0, 1, vcc_lo
	v_cmp_gt_i32_e32 vcc_lo, 31, v8
	v_cvt_f64_f32_e32 v[4:5], v4
	s_delay_alu instid0(VALU_DEP_3)
	v_lshl_or_b32 v14, v14, 9, 0x7c00
	s_wait_alu 0xfffd
	v_cndmask_b32_e32 v18, 0x7c00, v18, vcc_lo
	v_cmp_ne_u32_e32 vcc_lo, 0, v1
	s_wait_alu 0xfffd
	v_cndmask_b32_e64 v1, 0, 1, vcc_lo
	v_cmp_ne_u32_e32 vcc_lo, v21, v15
	v_add_nc_u32_e32 v21, 0xfffffc10, v23
	v_sub_nc_u32_e32 v23, 0x3f1, v25
	v_mul_f64_e32 v[6:7], s[28:29], v[6:7]
	v_and_or_b32 v1, 0xffe, v24, v1
	s_wait_alu 0xfffd
	v_cndmask_b32_e64 v15, 0, 1, vcc_lo
	v_cmp_eq_u32_e32 vcc_lo, 0x40f, v8
	v_med3_i32 v23, v23, 0, 13
	v_or_b32_e32 v24, 0x1000, v1
	s_delay_alu instid0(VALU_DEP_4)
	v_or_b32_e32 v15, v22, v15
	v_lshl_or_b32 v22, v21, 12, v20
	s_wait_alu 0xfffd
	v_cndmask_b32_e32 v8, v18, v14, vcc_lo
	v_cmp_gt_i32_e32 vcc_lo, 1, v21
	v_lshl_or_b32 v18, v19, 16, v13
	v_and_b32_e32 v19, 0xffff, v10
	s_delay_alu instid0(VALU_DEP_4)
	v_and_or_b32 v8, 0x8000, v12, v8
	s_wait_alu 0xfffd
	v_cndmask_b32_e32 v14, v22, v15, vcc_lo
	v_lshrrev_b32_e32 v15, v23, v24
	v_lshrrev_b32_e32 v22, 16, v0
	v_add_co_u32 v10, vcc_lo, v16, s26
	s_delay_alu instid0(VALU_DEP_4) | instskip(NEXT) | instid1(VALU_DEP_4)
	v_and_b32_e32 v12, 7, v14
	v_lshlrev_b32_e32 v13, v23, v15
	s_delay_alu instid0(VALU_DEP_4)
	v_mul_f16_e32 v16, v60, v22
	s_wait_alu 0xfffd
	v_add_co_ci_u32_e32 v11, vcc_lo, s27, v17, vcc_lo
	v_cmp_lt_i32_e32 vcc_lo, 5, v12
	v_cmp_ne_u32_e64 s1, v13, v24
	v_cmp_eq_u32_e64 s0, 3, v12
	v_fmac_f16_e32 v16, v44, v0
	v_lshrrev_b32_e32 v13, 2, v14
	v_add_nc_u32_e32 v17, 0xfffffc10, v25
	s_wait_alu 0xf1ff
	v_cndmask_b32_e64 v12, 0, 1, s1
	s_or_b32 vcc_lo, s0, vcc_lo
	v_mul_f64_e32 v[4:5], s[28:29], v[4:5]
	v_lshl_or_b32 v19, v8, 16, v19
	v_lshl_or_b32 v14, v17, 12, v1
	v_or_b32_e32 v12, v15, v12
	v_cvt_f32_f16_e32 v15, v16
	s_wait_alu 0xfffe
	v_add_co_ci_u32_e32 v16, vcc_lo, 0, v13, vcc_lo
	v_cmp_gt_i32_e32 vcc_lo, 1, v17
	v_and_or_b32 v6, 0x1ff, v7, v6
	v_mul_f16_e32 v0, v60, v0
	v_lshrrev_b32_e32 v24, 16, v9
	s_wait_alu 0xfffd
	v_cndmask_b32_e32 v14, v14, v12, vcc_lo
	v_cmp_ne_u32_e32 vcc_lo, 0, v20
	v_cvt_f64_f32_e32 v[12:13], v15
	v_cmp_ne_u32_e64 s1, 0, v6
	v_fma_f16 v0, v44, v22, -v0
	v_and_b32_e32 v20, 7, v14
	s_wait_alu 0xfffd
	v_cndmask_b32_e64 v15, 0, 1, vcc_lo
	v_cmp_gt_i32_e32 vcc_lo, 31, v21
	v_lshrrev_b32_e32 v14, 2, v14
	s_wait_alu 0xf1ff
	v_cndmask_b32_e64 v6, 0, 1, s1
	v_cmp_eq_u32_e64 s0, 3, v20
	v_lshl_or_b32 v15, v15, 9, 0x7c00
	s_wait_alu 0xfffd
	v_cndmask_b32_e32 v8, 0x7c00, v16, vcc_lo
	v_cmp_lt_i32_e32 vcc_lo, 5, v20
	v_lshrrev_b32_e32 v16, 8, v7
	v_bfe_u32 v20, v7, 20, 11
	v_cvt_f32_f16_e32 v0, v0
	s_or_b32 vcc_lo, s0, vcc_lo
	s_delay_alu instid0(VALU_DEP_3)
	v_and_or_b32 v6, 0xffe, v16, v6
	s_wait_alu 0xfffe
	v_add_co_ci_u32_e32 v14, vcc_lo, 0, v14, vcc_lo
	v_cmp_ne_u32_e32 vcc_lo, 0, v1
	v_sub_nc_u32_e32 v16, 0x3f1, v20
	v_or_b32_e32 v23, 0x1000, v6
	v_add_nc_u32_e32 v20, 0xfffffc10, v20
	v_and_or_b32 v4, 0x1ff, v5, v4
	s_wait_alu 0xfffd
	v_cndmask_b32_e64 v1, 0, 1, vcc_lo
	v_cmp_gt_i32_e32 vcc_lo, 31, v17
	v_med3_i32 v16, v16, 0, 13
	v_cmp_eq_u32_e64 s1, 0x40f, v20
	s_delay_alu instid0(VALU_DEP_4)
	v_lshl_or_b32 v1, v1, 9, 0x7c00
	s_wait_alu 0xfffd
	v_cndmask_b32_e32 v14, 0x7c00, v14, vcc_lo
	v_cmp_eq_u32_e32 vcc_lo, 0x40f, v21
	v_lshrrev_b32_e32 v25, v16, v23
	s_wait_alu 0xfffd
	v_cndmask_b32_e32 v21, v8, v15, vcc_lo
	v_cmp_eq_u32_e32 vcc_lo, 0x40f, v17
	s_delay_alu instid0(VALU_DEP_3)
	v_lshlrev_b32_e32 v15, v16, v25
	v_mul_f64_e32 v[8:9], s[28:29], v[12:13]
	v_bfe_u32 v17, v5, 20, 11
	v_cvt_f64_f32_e32 v[12:13], v0
	s_wait_alu 0xfffd
	v_cndmask_b32_e32 v1, v14, v1, vcc_lo
	v_cmp_ne_u32_e32 vcc_lo, 0, v4
	v_lshrrev_b32_e32 v14, 8, v5
	v_and_or_b32 v21, 0x8000, v24, v21
	v_lshrrev_b32_e32 v5, 16, v5
	v_and_or_b32 v2, 0x8000, v2, v1
	s_wait_alu 0xfffd
	v_cndmask_b32_e64 v4, 0, 1, vcc_lo
	v_cmp_ne_u32_e32 vcc_lo, v15, v23
	v_lshl_or_b32 v23, v20, 12, v6
	v_and_b32_e32 v21, 0xffff, v21
	s_delay_alu instid0(VALU_DEP_4)
	v_and_or_b32 v4, 0xffe, v14, v4
	v_sub_nc_u32_e32 v14, 0x3f1, v17
	s_wait_alu 0xfffd
	v_cndmask_b32_e64 v16, 0, 1, vcc_lo
	v_lshl_or_b32 v2, v2, 16, v21
	v_or_b32_e32 v22, 0x1000, v4
	v_med3_i32 v0, v14, 0, 13
	v_add_co_u32 v14, vcc_lo, v10, s26
	s_wait_alu 0xfffd
	v_add_co_ci_u32_e32 v15, vcc_lo, s27, v11, vcc_lo
	v_or_b32_e32 v16, v25, v16
	v_cmp_gt_i32_e32 vcc_lo, 1, v20
	v_lshrrev_b32_e32 v25, v0, v22
	global_store_b32 v[10:11], v18, off
	global_store_b32 v[14:15], v19, off
	s_wait_alu 0xfffd
	v_cndmask_b32_e32 v16, v23, v16, vcc_lo
	v_mul_f16_e32 v23, v57, v26
	v_lshlrev_b32_e32 v24, v0, v25
	v_mad_co_u64_u32 v[0:1], null, 0xfffffb5c, s24, v[14:15]
	s_delay_alu instid0(VALU_DEP_4) | instskip(NEXT) | instid1(VALU_DEP_4)
	v_and_b32_e32 v27, 7, v16
	v_fmac_f16_e32 v23, v43, v3
	s_delay_alu instid0(VALU_DEP_4)
	v_cmp_ne_u32_e64 s0, v24, v22
	v_lshrrev_b32_e32 v16, 2, v16
	v_and_or_b32 v8, 0x1ff, v9, v8
	v_cmp_lt_i32_e32 vcc_lo, 5, v27
	v_cvt_f32_f16_e32 v10, v23
	s_wait_alu 0xf1ff
	v_cndmask_b32_e64 v14, 0, 1, s0
	v_cmp_eq_u32_e64 s0, 3, v27
	v_add_nc_u32_e32 v15, 0xfffffc10, v17
	v_mul_f64_e32 v[12:13], s[28:29], v[12:13]
	v_cvt_f64_f32_e32 v[10:11], v10
	v_or_b32_e32 v14, v25, v14
	s_or_b32 vcc_lo, s0, vcc_lo
	v_lshl_or_b32 v17, v15, 12, v4
	s_wait_alu 0xfffe
	v_add_co_ci_u32_e32 v16, vcc_lo, 0, v16, vcc_lo
	v_cmp_ne_u32_e32 vcc_lo, 0, v8
	v_lshrrev_b32_e32 v18, 8, v9
	v_bfe_u32 v19, v9, 20, 11
	v_mul_f16_e32 v3, v57, v3
	v_add_nc_u32_e32 v1, s23, v1
	s_wait_alu 0xfffd
	v_cndmask_b32_e64 v8, 0, 1, vcc_lo
	v_cmp_gt_i32_e32 vcc_lo, 1, v15
	v_fma_f16 v3, v43, v26, -v3
	s_delay_alu instid0(VALU_DEP_3)
	v_and_or_b32 v8, 0xffe, v18, v8
	s_wait_alu 0xfffd
	v_cndmask_b32_e32 v14, v17, v14, vcc_lo
	v_cmp_ne_u32_e32 vcc_lo, 0, v6
	v_sub_nc_u32_e32 v17, 0x3f1, v19
	v_cvt_f32_f16_e32 v3, v3
	v_or_b32_e32 v22, 0x1000, v8
	v_and_b32_e32 v18, 7, v14
	s_wait_alu 0xfffd
	v_cndmask_b32_e64 v6, 0, 1, vcc_lo
	v_cmp_gt_i32_e32 vcc_lo, 31, v20
	v_med3_i32 v17, v17, 0, 13
	v_lshrrev_b32_e32 v14, 2, v14
	v_cmp_eq_u32_e64 s0, 3, v18
	v_lshl_or_b32 v6, v6, 9, 0x7c00
	s_wait_alu 0xfffd
	v_cndmask_b32_e32 v16, 0x7c00, v16, vcc_lo
	v_cmp_lt_i32_e32 vcc_lo, 5, v18
	v_lshrrev_b32_e32 v18, v17, v22
	v_lshrrev_b32_e32 v20, 16, v7
	s_delay_alu instid0(VALU_DEP_4) | instskip(SKIP_1) | instid1(VALU_DEP_3)
	v_cndmask_b32_e64 v16, v16, v6, s1
	s_or_b32 vcc_lo, s0, vcc_lo
	v_lshlrev_b32_e32 v17, v17, v18
	s_wait_alu 0xfffe
	v_add_co_ci_u32_e32 v14, vcc_lo, 0, v14, vcc_lo
	v_cmp_ne_u32_e32 vcc_lo, 0, v4
	v_mul_f64_e32 v[6:7], s[28:29], v[10:11]
	ds_load_b32 v10, v54 offset:1512
	v_and_or_b32 v12, 0x1ff, v13, v12
	v_and_or_b32 v16, 0x8000, v20, v16
	s_wait_alu 0xfffd
	v_cndmask_b32_e64 v4, 0, 1, vcc_lo
	v_cmp_ne_u32_e32 vcc_lo, v17, v22
	v_add_nc_u32_e32 v17, 0xfffffc10, v19
	v_bfe_u32 v20, v13, 20, 11
	v_and_b32_e32 v16, 0xffff, v16
	v_lshl_or_b32 v19, v4, 9, 0x7c00
	s_wait_alu 0xfffd
	v_cndmask_b32_e64 v11, 0, 1, vcc_lo
	v_cmp_gt_i32_e32 vcc_lo, 31, v15
	s_delay_alu instid0(VALU_DEP_2)
	v_or_b32_e32 v4, v18, v11
	s_wait_alu 0xfffd
	v_cndmask_b32_e32 v14, 0x7c00, v14, vcc_lo
	v_lshl_or_b32 v11, v17, 12, v8
	v_cmp_gt_i32_e32 vcc_lo, 1, v17
	v_lshrrev_b32_e32 v18, 8, v13
	v_lshrrev_b32_e32 v13, 16, v13
	s_wait_dscnt 0x0
	v_lshrrev_b32_e32 v21, 16, v10
	s_wait_alu 0xfffd
	v_cndmask_b32_e32 v11, v11, v4, vcc_lo
	v_cmp_ne_u32_e32 vcc_lo, 0, v12
	v_cvt_f64_f32_e32 v[3:4], v3
	s_wait_alu 0xfffd
	v_cndmask_b32_e64 v12, 0, 1, vcc_lo
	v_cmp_eq_u32_e32 vcc_lo, 0x40f, v15
	v_and_b32_e32 v15, 7, v11
	s_delay_alu instid0(VALU_DEP_3)
	v_and_or_b32 v12, 0xffe, v18, v12
	s_wait_alu 0xfffd
	v_cndmask_b32_e32 v14, v14, v19, vcc_lo
	v_sub_nc_u32_e32 v18, 0x3f1, v20
	v_mul_f16_e32 v19, v50, v21
	v_cmp_lt_i32_e32 vcc_lo, 5, v15
	v_or_b32_e32 v22, 0x1000, v12
	v_cmp_eq_u32_e64 s0, 3, v15
	v_med3_i32 v18, v18, 0, 13
	v_fmac_f16_e32 v19, v42, v10
	v_and_or_b32 v14, 0x8000, v5, v14
	v_lshrrev_b32_e32 v5, 2, v11
	s_or_b32 vcc_lo, s0, vcc_lo
	v_lshrrev_b32_e32 v11, v18, v22
	v_cvt_f32_f16_e32 v15, v19
	v_and_or_b32 v19, 0x1ff, v7, v6
	s_wait_alu 0xfffe
	v_add_co_ci_u32_e32 v23, vcc_lo, 0, v5, vcc_lo
	v_mul_f16_e32 v10, v50, v10
	v_cvt_f64_f32_e32 v[5:6], v15
	v_lshlrev_b32_e32 v15, v18, v11
	v_cmp_ne_u32_e32 vcc_lo, 0, v19
	v_add_nc_u32_e32 v20, 0xfffffc10, v20
	v_fma_f16 v10, v42, v21, -v10
	v_lshrrev_b32_e32 v19, 8, v7
	v_bfe_u32 v21, v7, 20, 11
	s_wait_alu 0xfffd
	v_cndmask_b32_e64 v18, 0, 1, vcc_lo
	v_cmp_ne_u32_e32 vcc_lo, v15, v22
	v_cvt_f32_f16_e32 v10, v10
	v_lshl_or_b32 v24, v20, 12, v12
	v_mul_f64_e32 v[3:4], s[28:29], v[3:4]
	v_and_or_b32 v18, 0xffe, v19, v18
	s_wait_alu 0xfffd
	v_cndmask_b32_e64 v15, 0, 1, vcc_lo
	v_cmp_ne_u32_e32 vcc_lo, 0, v8
	v_sub_nc_u32_e32 v19, 0x3f1, v21
	v_lshl_or_b32 v14, v14, 16, v16
	v_or_b32_e32 v22, 0x1000, v18
	v_or_b32_e32 v15, v11, v15
	v_cvt_f64_f32_e32 v[10:11], v10
	s_wait_alu 0xfffd
	v_cndmask_b32_e64 v8, 0, 1, vcc_lo
	v_cmp_gt_i32_e32 vcc_lo, 1, v20
	v_med3_i32 v19, v19, 0, 13
	v_lshrrev_b32_e32 v7, 16, v7
	s_delay_alu instid0(VALU_DEP_4) | instskip(SKIP_4) | instid1(VALU_DEP_3)
	v_lshl_or_b32 v8, v8, 9, 0x7c00
	s_wait_alu 0xfffd
	v_cndmask_b32_e32 v15, v24, v15, vcc_lo
	v_cmp_gt_i32_e32 vcc_lo, 31, v17
	v_lshrrev_b32_e32 v25, v19, v22
	v_and_b32_e32 v24, 7, v15
	s_wait_alu 0xfffd
	v_cndmask_b32_e32 v23, 0x7c00, v23, vcc_lo
	v_cmp_eq_u32_e32 vcc_lo, 0x40f, v17
	v_lshlrev_b32_e32 v19, v19, v25
	v_lshrrev_b32_e32 v17, 16, v9
	v_cmp_eq_u32_e64 s0, 3, v24
	s_wait_alu 0xfffd
	v_cndmask_b32_e32 v16, v23, v8, vcc_lo
	v_cmp_lt_i32_e32 vcc_lo, 5, v24
	v_lshrrev_b32_e32 v8, 2, v15
	v_mul_f64_e32 v[5:6], s[28:29], v[5:6]
	v_cmp_ne_u32_e64 s1, v19, v22
	v_add_nc_u32_e32 v15, 0xfffffc10, v21
	s_or_b32 vcc_lo, s0, vcc_lo
	v_and_or_b32 v16, 0x8000, v17, v16
	s_wait_alu 0xfffe
	v_add_co_ci_u32_e32 v8, vcc_lo, 0, v8, vcc_lo
	v_cmp_ne_u32_e32 vcc_lo, 0, v12
	v_cndmask_b32_e64 v9, 0, 1, s1
	v_lshl_or_b32 v21, v15, 12, v18
	v_and_or_b32 v3, 0x1ff, v4, v3
	v_bfe_u32 v23, v4, 20, 11
	s_wait_alu 0xfffd
	v_cndmask_b32_e64 v12, 0, 1, vcc_lo
	v_cmp_gt_i32_e32 vcc_lo, 31, v20
	v_or_b32_e32 v19, v25, v9
	v_and_b32_e32 v16, 0xffff, v16
	s_delay_alu instid0(VALU_DEP_4)
	v_lshl_or_b32 v12, v12, 9, 0x7c00
	s_wait_alu 0xfffd
	v_cndmask_b32_e32 v22, 0x7c00, v8, vcc_lo
	v_mul_f64_e32 v[8:9], s[28:29], v[10:11]
	v_add_co_u32 v10, vcc_lo, v0, s26
	s_wait_alu 0xfffd
	v_add_co_ci_u32_e32 v11, vcc_lo, s27, v1, vcc_lo
	v_cmp_gt_i32_e32 vcc_lo, 1, v15
	s_wait_alu 0xfffd
	v_cndmask_b32_e32 v19, v21, v19, vcc_lo
	v_cmp_ne_u32_e32 vcc_lo, 0, v3
	v_lshrrev_b32_e32 v21, 8, v4
	v_lshrrev_b32_e32 v4, 16, v4
	s_wait_alu 0xfffd
	v_cndmask_b32_e64 v3, 0, 1, vcc_lo
	v_cmp_eq_u32_e32 vcc_lo, 0x40f, v20
	v_and_b32_e32 v20, 7, v19
	v_lshrrev_b32_e32 v19, 2, v19
	v_and_or_b32 v5, 0x1ff, v6, v5
	v_and_or_b32 v3, 0xffe, v21, v3
	s_wait_alu 0xfffd
	v_cndmask_b32_e32 v12, v22, v12, vcc_lo
	v_sub_nc_u32_e32 v21, 0x3f1, v23
	v_cmp_lt_i32_e32 vcc_lo, 5, v20
	v_cmp_eq_u32_e64 s0, 3, v20
	v_bfe_u32 v22, v6, 20, 11
	v_and_or_b32 v12, 0x8000, v13, v12
	v_or_b32_e32 v13, 0x1000, v3
	v_med3_i32 v17, v21, 0, 13
	s_or_b32 vcc_lo, s0, vcc_lo
	v_lshrrev_b32_e32 v21, 8, v6
	s_wait_alu 0xfffe
	v_add_co_ci_u32_e32 v19, vcc_lo, 0, v19, vcc_lo
	v_lshrrev_b32_e32 v20, v17, v13
	v_cmp_ne_u32_e32 vcc_lo, 0, v5
	v_lshrrev_b32_e32 v6, 16, v6
	v_lshl_or_b32 v12, v12, 16, v16
	v_and_or_b32 v8, 0x1ff, v9, v8
	v_lshlrev_b32_e32 v17, v17, v20
	s_wait_alu 0xfffd
	v_cndmask_b32_e64 v5, 0, 1, vcc_lo
	v_cmp_ne_u32_e32 vcc_lo, 0, v18
	v_lshrrev_b32_e32 v24, 8, v9
	v_bfe_u32 v25, v9, 20, 11
	s_delay_alu instid0(VALU_DEP_4)
	v_and_or_b32 v5, 0xffe, v21, v5
	s_wait_alu 0xfffd
	v_cndmask_b32_e64 v18, 0, 1, vcc_lo
	v_cmp_ne_u32_e32 vcc_lo, v17, v13
	v_sub_nc_u32_e32 v21, 0x3f1, v22
	v_add_nc_u32_e32 v17, 0xfffffc10, v23
	v_or_b32_e32 v23, 0x1000, v5
	v_lshl_or_b32 v18, v18, 9, 0x7c00
	s_wait_alu 0xfffd
	v_cndmask_b32_e64 v13, 0, 1, vcc_lo
	v_cmp_gt_i32_e32 vcc_lo, 31, v15
	v_med3_i32 v21, v21, 0, 13
	s_delay_alu instid0(VALU_DEP_3)
	v_or_b32_e32 v13, v20, v13
	s_wait_alu 0xfffd
	v_cndmask_b32_e32 v19, 0x7c00, v19, vcc_lo
	v_cmp_ne_u32_e32 vcc_lo, 0, v8
	v_lshl_or_b32 v20, v17, 12, v3
	v_lshrrev_b32_e32 v26, v21, v23
	s_wait_alu 0xfffd
	v_cndmask_b32_e64 v8, 0, 1, vcc_lo
	v_cmp_gt_i32_e32 vcc_lo, 1, v17
	s_delay_alu instid0(VALU_DEP_2)
	v_and_or_b32 v8, 0xffe, v24, v8
	v_sub_nc_u32_e32 v24, 0x3f1, v25
	s_wait_alu 0xfffd
	v_dual_cndmask_b32 v13, v20, v13 :: v_dual_lshlrev_b32 v20, v21, v26
	v_cmp_eq_u32_e32 vcc_lo, 0x40f, v15
	v_or_b32_e32 v21, 0x1000, v8
	v_med3_i32 v24, v24, 0, 13
	s_delay_alu instid0(VALU_DEP_4)
	v_and_b32_e32 v27, 7, v13
	v_lshrrev_b32_e32 v13, 2, v13
	s_wait_alu 0xfffd
	v_cndmask_b32_e32 v15, v19, v18, vcc_lo
	v_cmp_ne_u32_e32 vcc_lo, v20, v23
	v_add_nc_u32_e32 v19, 0xfffffc10, v22
	v_lshrrev_b32_e32 v20, v24, v21
	v_cmp_eq_u32_e64 s0, 3, v27
	v_and_or_b32 v7, 0x8000, v7, v15
	s_wait_alu 0xfffd
	v_cndmask_b32_e64 v18, 0, 1, vcc_lo
	v_lshl_or_b32 v22, v19, 12, v5
	v_lshlrev_b32_e32 v23, v24, v20
	v_cmp_gt_i32_e64 s1, 1, v19
	v_cmp_lt_i32_e32 vcc_lo, 5, v27
	v_or_b32_e32 v18, v26, v18
	v_and_b32_e32 v7, 0xffff, v7
	s_or_b32 vcc_lo, s0, vcc_lo
	s_delay_alu instid0(VALU_DEP_2)
	v_cndmask_b32_e64 v18, v22, v18, s1
	v_cmp_ne_u32_e64 s1, v23, v21
	v_add_nc_u32_e32 v22, 0xfffffc10, v25
	s_wait_alu 0xfffe
	v_add_co_ci_u32_e32 v13, vcc_lo, 0, v13, vcc_lo
	v_and_b32_e32 v23, 7, v18
	s_wait_alu 0xf1ff
	v_cndmask_b32_e64 v21, 0, 1, s1
	v_cmp_ne_u32_e32 vcc_lo, 0, v3
	v_cmp_gt_i32_e64 s0, 1, v22
	v_lshrrev_b32_e32 v18, 2, v18
	v_cmp_gt_i32_e64 s1, 31, v17
	v_or_b32_e32 v20, v20, v21
	v_lshl_or_b32 v21, v22, 12, v8
	s_wait_alu 0xfffd
	v_cndmask_b32_e64 v3, 0, 1, vcc_lo
	v_cmp_lt_i32_e32 vcc_lo, 5, v23
	s_wait_alu 0xf1ff
	v_cndmask_b32_e64 v13, 0x7c00, v13, s1
	v_cmp_eq_u32_e64 s1, 0x40f, v17
	v_cndmask_b32_e64 v15, v21, v20, s0
	v_cmp_eq_u32_e64 s0, 3, v23
	v_lshl_or_b32 v3, v3, 9, 0x7c00
	s_delay_alu instid0(VALU_DEP_3) | instskip(NEXT) | instid1(VALU_DEP_3)
	v_and_b32_e32 v20, 7, v15
	s_or_b32 vcc_lo, s0, vcc_lo
	s_delay_alu instid0(VALU_DEP_2)
	v_cndmask_b32_e64 v3, v13, v3, s1
	s_wait_alu 0xfffe
	v_add_co_ci_u32_e32 v18, vcc_lo, 0, v18, vcc_lo
	v_cmp_ne_u32_e32 vcc_lo, 0, v5
	v_cmp_eq_u32_e64 s0, 3, v20
	v_lshrrev_b32_e32 v13, 2, v15
	v_cmp_gt_i32_e64 s1, 31, v19
	s_wait_alu 0xfffd
	v_cndmask_b32_e64 v5, 0, 1, vcc_lo
	v_cmp_lt_i32_e32 vcc_lo, 5, v20
	s_wait_alu 0xf1ff
	v_cndmask_b32_e64 v15, 0x7c00, v18, s1
	s_delay_alu instid0(VALU_DEP_3)
	v_lshl_or_b32 v5, v5, 9, 0x7c00
	s_or_b32 vcc_lo, s0, vcc_lo
	s_wait_alu 0xfffe
	v_add_co_ci_u32_e32 v13, vcc_lo, 0, v13, vcc_lo
	v_cmp_ne_u32_e32 vcc_lo, 0, v8
	s_wait_alu 0xfffd
	v_cndmask_b32_e64 v8, 0, 1, vcc_lo
	v_cmp_eq_u32_e32 vcc_lo, 0x40f, v19
	s_delay_alu instid0(VALU_DEP_2) | instskip(SKIP_4) | instid1(VALU_DEP_3)
	v_lshl_or_b32 v8, v8, 9, 0x7c00
	s_wait_alu 0xfffd
	v_cndmask_b32_e32 v5, v15, v5, vcc_lo
	v_cmp_gt_i32_e32 vcc_lo, 31, v22
	v_and_or_b32 v15, 0x8000, v4, v3
	v_and_or_b32 v5, 0x8000, v6, v5
	s_wait_alu 0xfffd
	v_cndmask_b32_e32 v13, 0x7c00, v13, vcc_lo
	v_cmp_eq_u32_e32 vcc_lo, 0x40f, v22
	s_wait_alu 0xfffd
	s_delay_alu instid0(VALU_DEP_2)
	v_cndmask_b32_e32 v6, v13, v8, vcc_lo
	v_lshrrev_b32_e32 v8, 16, v9
	v_add_co_u32 v3, vcc_lo, v10, s26
	s_wait_alu 0xfffd
	v_add_co_ci_u32_e32 v4, vcc_lo, s27, v11, vcc_lo
	v_lshl_or_b32 v9, v15, 16, v7
	v_and_or_b32 v7, 0x8000, v8, v6
	v_and_b32_e32 v8, 0xffff, v5
	v_add_co_u32 v5, vcc_lo, v3, s26
	s_wait_alu 0xfffd
	v_add_co_ci_u32_e32 v6, vcc_lo, s27, v4, vcc_lo
	s_delay_alu instid0(VALU_DEP_3) | instskip(NEXT) | instid1(VALU_DEP_3)
	v_lshl_or_b32 v13, v7, 16, v8
	v_add_co_u32 v7, vcc_lo, v5, s26
	s_wait_alu 0xfffd
	s_delay_alu instid0(VALU_DEP_3)
	v_add_co_ci_u32_e32 v8, vcc_lo, s27, v6, vcc_lo
	global_store_b32 v[0:1], v2, off
	global_store_b32 v[10:11], v14, off
	global_store_b32 v[3:4], v12, off
	global_store_b32 v[5:6], v9, off
	global_store_b32 v[7:8], v13, off
.LBB0_2:
	s_nop 0
	s_sendmsg sendmsg(MSG_DEALLOC_VGPRS)
	s_endpgm
	.section	.rodata,"a",@progbits
	.p2align	6, 0x0
	.amdhsa_kernel bluestein_single_back_len405_dim1_half_op_CI_CI
		.amdhsa_group_segment_fixed_size 6480
		.amdhsa_private_segment_fixed_size 0
		.amdhsa_kernarg_size 104
		.amdhsa_user_sgpr_count 2
		.amdhsa_user_sgpr_dispatch_ptr 0
		.amdhsa_user_sgpr_queue_ptr 0
		.amdhsa_user_sgpr_kernarg_segment_ptr 1
		.amdhsa_user_sgpr_dispatch_id 0
		.amdhsa_user_sgpr_private_segment_size 0
		.amdhsa_wavefront_size32 1
		.amdhsa_uses_dynamic_stack 0
		.amdhsa_enable_private_segment 0
		.amdhsa_system_sgpr_workgroup_id_x 1
		.amdhsa_system_sgpr_workgroup_id_y 0
		.amdhsa_system_sgpr_workgroup_id_z 0
		.amdhsa_system_sgpr_workgroup_info 0
		.amdhsa_system_vgpr_workitem_id 0
		.amdhsa_next_free_vgpr 170
		.amdhsa_next_free_sgpr 30
		.amdhsa_reserve_vcc 1
		.amdhsa_float_round_mode_32 0
		.amdhsa_float_round_mode_16_64 0
		.amdhsa_float_denorm_mode_32 3
		.amdhsa_float_denorm_mode_16_64 3
		.amdhsa_fp16_overflow 0
		.amdhsa_workgroup_processor_mode 1
		.amdhsa_memory_ordered 1
		.amdhsa_forward_progress 0
		.amdhsa_round_robin_scheduling 0
		.amdhsa_exception_fp_ieee_invalid_op 0
		.amdhsa_exception_fp_denorm_src 0
		.amdhsa_exception_fp_ieee_div_zero 0
		.amdhsa_exception_fp_ieee_overflow 0
		.amdhsa_exception_fp_ieee_underflow 0
		.amdhsa_exception_fp_ieee_inexact 0
		.amdhsa_exception_int_div_zero 0
	.end_amdhsa_kernel
	.text
.Lfunc_end0:
	.size	bluestein_single_back_len405_dim1_half_op_CI_CI, .Lfunc_end0-bluestein_single_back_len405_dim1_half_op_CI_CI
                                        ; -- End function
	.section	.AMDGPU.csdata,"",@progbits
; Kernel info:
; codeLenInByte = 25448
; NumSgprs: 32
; NumVgprs: 170
; ScratchSize: 0
; MemoryBound: 0
; FloatMode: 240
; IeeeMode: 1
; LDSByteSize: 6480 bytes/workgroup (compile time only)
; SGPRBlocks: 3
; VGPRBlocks: 21
; NumSGPRsForWavesPerEU: 32
; NumVGPRsForWavesPerEU: 170
; Occupancy: 8
; WaveLimiterHint : 1
; COMPUTE_PGM_RSRC2:SCRATCH_EN: 0
; COMPUTE_PGM_RSRC2:USER_SGPR: 2
; COMPUTE_PGM_RSRC2:TRAP_HANDLER: 0
; COMPUTE_PGM_RSRC2:TGID_X_EN: 1
; COMPUTE_PGM_RSRC2:TGID_Y_EN: 0
; COMPUTE_PGM_RSRC2:TGID_Z_EN: 0
; COMPUTE_PGM_RSRC2:TIDIG_COMP_CNT: 0
	.text
	.p2alignl 7, 3214868480
	.fill 96, 4, 3214868480
	.type	__hip_cuid_19fdfbd6792dab94,@object ; @__hip_cuid_19fdfbd6792dab94
	.section	.bss,"aw",@nobits
	.globl	__hip_cuid_19fdfbd6792dab94
__hip_cuid_19fdfbd6792dab94:
	.byte	0                               ; 0x0
	.size	__hip_cuid_19fdfbd6792dab94, 1

	.ident	"AMD clang version 19.0.0git (https://github.com/RadeonOpenCompute/llvm-project roc-6.4.0 25133 c7fe45cf4b819c5991fe208aaa96edf142730f1d)"
	.section	".note.GNU-stack","",@progbits
	.addrsig
	.addrsig_sym __hip_cuid_19fdfbd6792dab94
	.amdgpu_metadata
---
amdhsa.kernels:
  - .args:
      - .actual_access:  read_only
        .address_space:  global
        .offset:         0
        .size:           8
        .value_kind:     global_buffer
      - .actual_access:  read_only
        .address_space:  global
        .offset:         8
        .size:           8
        .value_kind:     global_buffer
      - .actual_access:  read_only
        .address_space:  global
        .offset:         16
        .size:           8
        .value_kind:     global_buffer
      - .actual_access:  read_only
        .address_space:  global
        .offset:         24
        .size:           8
        .value_kind:     global_buffer
      - .actual_access:  read_only
        .address_space:  global
        .offset:         32
        .size:           8
        .value_kind:     global_buffer
      - .offset:         40
        .size:           8
        .value_kind:     by_value
      - .address_space:  global
        .offset:         48
        .size:           8
        .value_kind:     global_buffer
      - .address_space:  global
        .offset:         56
        .size:           8
        .value_kind:     global_buffer
      - .address_space:  global
        .offset:         64
        .size:           8
        .value_kind:     global_buffer
      - .address_space:  global
        .offset:         72
        .size:           8
        .value_kind:     global_buffer
      - .offset:         80
        .size:           4
        .value_kind:     by_value
      - .address_space:  global
        .offset:         88
        .size:           8
        .value_kind:     global_buffer
      - .address_space:  global
        .offset:         96
        .size:           8
        .value_kind:     global_buffer
    .group_segment_fixed_size: 6480
    .kernarg_segment_align: 8
    .kernarg_segment_size: 104
    .language:       OpenCL C
    .language_version:
      - 2
      - 0
    .max_flat_workgroup_size: 108
    .name:           bluestein_single_back_len405_dim1_half_op_CI_CI
    .private_segment_fixed_size: 0
    .sgpr_count:     32
    .sgpr_spill_count: 0
    .symbol:         bluestein_single_back_len405_dim1_half_op_CI_CI.kd
    .uniform_work_group_size: 1
    .uses_dynamic_stack: false
    .vgpr_count:     170
    .vgpr_spill_count: 0
    .wavefront_size: 32
    .workgroup_processor_mode: 1
amdhsa.target:   amdgcn-amd-amdhsa--gfx1201
amdhsa.version:
  - 1
  - 2
...

	.end_amdgpu_metadata
